;; amdgpu-corpus repo=ROCm/composable_kernel kind=compiled arch=gfx906 opt=O3
	.amdgcn_target "amdgcn-amd-amdhsa--gfx906"
	.amdhsa_code_object_version 6
	.section	.text._ZN2ckL12flush_icacheEv,"axG",@progbits,_ZN2ckL12flush_icacheEv,comdat
	.globl	_ZN2ckL12flush_icacheEv         ; -- Begin function _ZN2ckL12flush_icacheEv
	.p2align	8
	.type	_ZN2ckL12flush_icacheEv,@function
_ZN2ckL12flush_icacheEv:                ; @_ZN2ckL12flush_icacheEv
; %bb.0:
	;;#ASMSTART
	s_icache_inv 
	s_nop 0 
	s_nop 0 
	;; [unrolled: 1-line block ×16, first 2 shown]
	
	;;#ASMEND
	s_endpgm
	.section	.rodata,"a",@progbits
	.p2align	6, 0x0
	.amdhsa_kernel _ZN2ckL12flush_icacheEv
		.amdhsa_group_segment_fixed_size 0
		.amdhsa_private_segment_fixed_size 0
		.amdhsa_kernarg_size 0
		.amdhsa_user_sgpr_count 4
		.amdhsa_user_sgpr_private_segment_buffer 1
		.amdhsa_user_sgpr_dispatch_ptr 0
		.amdhsa_user_sgpr_queue_ptr 0
		.amdhsa_user_sgpr_kernarg_segment_ptr 0
		.amdhsa_user_sgpr_dispatch_id 0
		.amdhsa_user_sgpr_flat_scratch_init 0
		.amdhsa_user_sgpr_private_segment_size 0
		.amdhsa_uses_dynamic_stack 0
		.amdhsa_system_sgpr_private_segment_wavefront_offset 0
		.amdhsa_system_sgpr_workgroup_id_x 1
		.amdhsa_system_sgpr_workgroup_id_y 0
		.amdhsa_system_sgpr_workgroup_id_z 0
		.amdhsa_system_sgpr_workgroup_info 0
		.amdhsa_system_vgpr_workitem_id 0
		.amdhsa_next_free_vgpr 1
		.amdhsa_next_free_sgpr 0
		.amdhsa_reserve_vcc 0
		.amdhsa_reserve_flat_scratch 0
		.amdhsa_float_round_mode_32 0
		.amdhsa_float_round_mode_16_64 0
		.amdhsa_float_denorm_mode_32 3
		.amdhsa_float_denorm_mode_16_64 3
		.amdhsa_dx10_clamp 1
		.amdhsa_ieee_mode 1
		.amdhsa_fp16_overflow 0
		.amdhsa_exception_fp_ieee_invalid_op 0
		.amdhsa_exception_fp_denorm_src 0
		.amdhsa_exception_fp_ieee_div_zero 0
		.amdhsa_exception_fp_ieee_overflow 0
		.amdhsa_exception_fp_ieee_underflow 0
		.amdhsa_exception_fp_ieee_inexact 0
		.amdhsa_exception_int_div_zero 0
	.end_amdhsa_kernel
	.section	.text._ZN2ckL12flush_icacheEv,"axG",@progbits,_ZN2ckL12flush_icacheEv,comdat
.Lfunc_end0:
	.size	_ZN2ckL12flush_icacheEv, .Lfunc_end0-_ZN2ckL12flush_icacheEv
                                        ; -- End function
	.set _ZN2ckL12flush_icacheEv.num_vgpr, 0
	.set _ZN2ckL12flush_icacheEv.num_agpr, 0
	.set _ZN2ckL12flush_icacheEv.numbered_sgpr, 0
	.set _ZN2ckL12flush_icacheEv.num_named_barrier, 0
	.set _ZN2ckL12flush_icacheEv.private_seg_size, 0
	.set _ZN2ckL12flush_icacheEv.uses_vcc, 0
	.set _ZN2ckL12flush_icacheEv.uses_flat_scratch, 0
	.set _ZN2ckL12flush_icacheEv.has_dyn_sized_stack, 0
	.set _ZN2ckL12flush_icacheEv.has_recursion, 0
	.set _ZN2ckL12flush_icacheEv.has_indirect_call, 0
	.section	.AMDGPU.csdata,"",@progbits
; Kernel info:
; codeLenInByte = 140
; TotalNumSgprs: 4
; NumVgprs: 0
; ScratchSize: 0
; MemoryBound: 0
; FloatMode: 240
; IeeeMode: 1
; LDSByteSize: 0 bytes/workgroup (compile time only)
; SGPRBlocks: 0
; VGPRBlocks: 0
; NumSGPRsForWavesPerEU: 4
; NumVGPRsForWavesPerEU: 1
; Occupancy: 10
; WaveLimiterHint : 0
; COMPUTE_PGM_RSRC2:SCRATCH_EN: 0
; COMPUTE_PGM_RSRC2:USER_SGPR: 4
; COMPUTE_PGM_RSRC2:TRAP_HANDLER: 0
; COMPUTE_PGM_RSRC2:TGID_X_EN: 1
; COMPUTE_PGM_RSRC2:TGID_Y_EN: 0
; COMPUTE_PGM_RSRC2:TGID_Z_EN: 0
; COMPUTE_PGM_RSRC2:TIDIG_COMP_CNT: 0
	.section	.text._ZN2ck35kernel_gemm_multiple_d_xdl_cshuffleINS_34GridwiseGemmMultipleD_xdl_cshuffleIfffffNS_5TupleIJffEEEfNS_16tensor_operation12element_wise11PassThroughES6_NS5_14AddAddFastGeluELi1ELi256ELi256ELi128ELi32ELi8ELi8ELi16ELi16ELi8ELi4ENS_8SequenceIJLi4ELi64ELi1EEEENS8_IJLi1ELi0ELi2EEEESA_Li2ELi4ELi4ELb0ELi1ES9_SA_SA_Li2ELi4ELi4ELb0ELi1ELi1ELi1ENS8_IJLi1ELi32ELi1ELi8EEEELi2ELNS_13LoopSchedulerE0ELNS_15PipelineVersionE0EfLb0EEEffNS2_IJPKfSG_EEEfS6_S6_S7_NS_16TensorDescriptorINS2_IJNS_5EmbedINS2_IJiiEEENS2_IJiNS_17integral_constantIiLi1EEEEEELb0EEENS_11PassThroughIiEESQ_NS_7UnMergeINS2_IJiNSL_IiLi8EEEEEELb0EEESQ_EEENS2_IJNS8_IJLi0EEEENS8_IJLi1EEEENS8_IJLi2EEEENS8_IJLi4EEEENS8_IJLi3EEEEEEENS2_IJNS8_IJLi1ELi2EEEES10_SZ_NS8_IJLi5ELi6EEEENS8_IJLi7EEEEEEENS8_IJLi5ELi7ELi6EEEElEES17_NS2_IJNSI_INS2_IJSO_SQ_SQ_NSR_INS2_IJiNSL_IiLi256EEEEEELb0EEENSR_INS2_IJiNSL_IiLi128EEEEEELb0EEEEEENS2_IJSW_SX_SY_S10_SZ_EEENS2_IJS12_S10_SZ_S13_NS8_IJLi7ELi8EEEEEEENS8_IJLi5ELi6ELi7ELi8EEEElEES1J_EEES1J_NS_31BlockToCTileMap_M00_N0_M01AdaptILi256ELi128ENSI_INS2_IJSO_SQ_SQ_EEENS2_IJSW_SX_SY_EEENS2_IJS12_S10_SZ_EEENS8_IJLi3ELi4EEEElEEiEELb1EEEvPKT0_PKT1_T2_PT3_T4_T5_T6_T7_T8_T9_T10_T11_,"axG",@progbits,_ZN2ck35kernel_gemm_multiple_d_xdl_cshuffleINS_34GridwiseGemmMultipleD_xdl_cshuffleIfffffNS_5TupleIJffEEEfNS_16tensor_operation12element_wise11PassThroughES6_NS5_14AddAddFastGeluELi1ELi256ELi256ELi128ELi32ELi8ELi8ELi16ELi16ELi8ELi4ENS_8SequenceIJLi4ELi64ELi1EEEENS8_IJLi1ELi0ELi2EEEESA_Li2ELi4ELi4ELb0ELi1ES9_SA_SA_Li2ELi4ELi4ELb0ELi1ELi1ELi1ENS8_IJLi1ELi32ELi1ELi8EEEELi2ELNS_13LoopSchedulerE0ELNS_15PipelineVersionE0EfLb0EEEffNS2_IJPKfSG_EEEfS6_S6_S7_NS_16TensorDescriptorINS2_IJNS_5EmbedINS2_IJiiEEENS2_IJiNS_17integral_constantIiLi1EEEEEELb0EEENS_11PassThroughIiEESQ_NS_7UnMergeINS2_IJiNSL_IiLi8EEEEEELb0EEESQ_EEENS2_IJNS8_IJLi0EEEENS8_IJLi1EEEENS8_IJLi2EEEENS8_IJLi4EEEENS8_IJLi3EEEEEEENS2_IJNS8_IJLi1ELi2EEEES10_SZ_NS8_IJLi5ELi6EEEENS8_IJLi7EEEEEEENS8_IJLi5ELi7ELi6EEEElEES17_NS2_IJNSI_INS2_IJSO_SQ_SQ_NSR_INS2_IJiNSL_IiLi256EEEEEELb0EEENSR_INS2_IJiNSL_IiLi128EEEEEELb0EEEEEENS2_IJSW_SX_SY_S10_SZ_EEENS2_IJS12_S10_SZ_S13_NS8_IJLi7ELi8EEEEEEENS8_IJLi5ELi6ELi7ELi8EEEElEES1J_EEES1J_NS_31BlockToCTileMap_M00_N0_M01AdaptILi256ELi128ENSI_INS2_IJSO_SQ_SQ_EEENS2_IJSW_SX_SY_EEENS2_IJS12_S10_SZ_EEENS8_IJLi3ELi4EEEElEEiEELb1EEEvPKT0_PKT1_T2_PT3_T4_T5_T6_T7_T8_T9_T10_T11_,comdat
	.protected	_ZN2ck35kernel_gemm_multiple_d_xdl_cshuffleINS_34GridwiseGemmMultipleD_xdl_cshuffleIfffffNS_5TupleIJffEEEfNS_16tensor_operation12element_wise11PassThroughES6_NS5_14AddAddFastGeluELi1ELi256ELi256ELi128ELi32ELi8ELi8ELi16ELi16ELi8ELi4ENS_8SequenceIJLi4ELi64ELi1EEEENS8_IJLi1ELi0ELi2EEEESA_Li2ELi4ELi4ELb0ELi1ES9_SA_SA_Li2ELi4ELi4ELb0ELi1ELi1ELi1ENS8_IJLi1ELi32ELi1ELi8EEEELi2ELNS_13LoopSchedulerE0ELNS_15PipelineVersionE0EfLb0EEEffNS2_IJPKfSG_EEEfS6_S6_S7_NS_16TensorDescriptorINS2_IJNS_5EmbedINS2_IJiiEEENS2_IJiNS_17integral_constantIiLi1EEEEEELb0EEENS_11PassThroughIiEESQ_NS_7UnMergeINS2_IJiNSL_IiLi8EEEEEELb0EEESQ_EEENS2_IJNS8_IJLi0EEEENS8_IJLi1EEEENS8_IJLi2EEEENS8_IJLi4EEEENS8_IJLi3EEEEEEENS2_IJNS8_IJLi1ELi2EEEES10_SZ_NS8_IJLi5ELi6EEEENS8_IJLi7EEEEEEENS8_IJLi5ELi7ELi6EEEElEES17_NS2_IJNSI_INS2_IJSO_SQ_SQ_NSR_INS2_IJiNSL_IiLi256EEEEEELb0EEENSR_INS2_IJiNSL_IiLi128EEEEEELb0EEEEEENS2_IJSW_SX_SY_S10_SZ_EEENS2_IJS12_S10_SZ_S13_NS8_IJLi7ELi8EEEEEEENS8_IJLi5ELi6ELi7ELi8EEEElEES1J_EEES1J_NS_31BlockToCTileMap_M00_N0_M01AdaptILi256ELi128ENSI_INS2_IJSO_SQ_SQ_EEENS2_IJSW_SX_SY_EEENS2_IJS12_S10_SZ_EEENS8_IJLi3ELi4EEEElEEiEELb1EEEvPKT0_PKT1_T2_PT3_T4_T5_T6_T7_T8_T9_T10_T11_ ; -- Begin function _ZN2ck35kernel_gemm_multiple_d_xdl_cshuffleINS_34GridwiseGemmMultipleD_xdl_cshuffleIfffffNS_5TupleIJffEEEfNS_16tensor_operation12element_wise11PassThroughES6_NS5_14AddAddFastGeluELi1ELi256ELi256ELi128ELi32ELi8ELi8ELi16ELi16ELi8ELi4ENS_8SequenceIJLi4ELi64ELi1EEEENS8_IJLi1ELi0ELi2EEEESA_Li2ELi4ELi4ELb0ELi1ES9_SA_SA_Li2ELi4ELi4ELb0ELi1ELi1ELi1ENS8_IJLi1ELi32ELi1ELi8EEEELi2ELNS_13LoopSchedulerE0ELNS_15PipelineVersionE0EfLb0EEEffNS2_IJPKfSG_EEEfS6_S6_S7_NS_16TensorDescriptorINS2_IJNS_5EmbedINS2_IJiiEEENS2_IJiNS_17integral_constantIiLi1EEEEEELb0EEENS_11PassThroughIiEESQ_NS_7UnMergeINS2_IJiNSL_IiLi8EEEEEELb0EEESQ_EEENS2_IJNS8_IJLi0EEEENS8_IJLi1EEEENS8_IJLi2EEEENS8_IJLi4EEEENS8_IJLi3EEEEEEENS2_IJNS8_IJLi1ELi2EEEES10_SZ_NS8_IJLi5ELi6EEEENS8_IJLi7EEEEEEENS8_IJLi5ELi7ELi6EEEElEES17_NS2_IJNSI_INS2_IJSO_SQ_SQ_NSR_INS2_IJiNSL_IiLi256EEEEEELb0EEENSR_INS2_IJiNSL_IiLi128EEEEEELb0EEEEEENS2_IJSW_SX_SY_S10_SZ_EEENS2_IJS12_S10_SZ_S13_NS8_IJLi7ELi8EEEEEEENS8_IJLi5ELi6ELi7ELi8EEEElEES1J_EEES1J_NS_31BlockToCTileMap_M00_N0_M01AdaptILi256ELi128ENSI_INS2_IJSO_SQ_SQ_EEENS2_IJSW_SX_SY_EEENS2_IJS12_S10_SZ_EEENS8_IJLi3ELi4EEEElEEiEELb1EEEvPKT0_PKT1_T2_PT3_T4_T5_T6_T7_T8_T9_T10_T11_
	.globl	_ZN2ck35kernel_gemm_multiple_d_xdl_cshuffleINS_34GridwiseGemmMultipleD_xdl_cshuffleIfffffNS_5TupleIJffEEEfNS_16tensor_operation12element_wise11PassThroughES6_NS5_14AddAddFastGeluELi1ELi256ELi256ELi128ELi32ELi8ELi8ELi16ELi16ELi8ELi4ENS_8SequenceIJLi4ELi64ELi1EEEENS8_IJLi1ELi0ELi2EEEESA_Li2ELi4ELi4ELb0ELi1ES9_SA_SA_Li2ELi4ELi4ELb0ELi1ELi1ELi1ENS8_IJLi1ELi32ELi1ELi8EEEELi2ELNS_13LoopSchedulerE0ELNS_15PipelineVersionE0EfLb0EEEffNS2_IJPKfSG_EEEfS6_S6_S7_NS_16TensorDescriptorINS2_IJNS_5EmbedINS2_IJiiEEENS2_IJiNS_17integral_constantIiLi1EEEEEELb0EEENS_11PassThroughIiEESQ_NS_7UnMergeINS2_IJiNSL_IiLi8EEEEEELb0EEESQ_EEENS2_IJNS8_IJLi0EEEENS8_IJLi1EEEENS8_IJLi2EEEENS8_IJLi4EEEENS8_IJLi3EEEEEEENS2_IJNS8_IJLi1ELi2EEEES10_SZ_NS8_IJLi5ELi6EEEENS8_IJLi7EEEEEEENS8_IJLi5ELi7ELi6EEEElEES17_NS2_IJNSI_INS2_IJSO_SQ_SQ_NSR_INS2_IJiNSL_IiLi256EEEEEELb0EEENSR_INS2_IJiNSL_IiLi128EEEEEELb0EEEEEENS2_IJSW_SX_SY_S10_SZ_EEENS2_IJS12_S10_SZ_S13_NS8_IJLi7ELi8EEEEEEENS8_IJLi5ELi6ELi7ELi8EEEElEES1J_EEES1J_NS_31BlockToCTileMap_M00_N0_M01AdaptILi256ELi128ENSI_INS2_IJSO_SQ_SQ_EEENS2_IJSW_SX_SY_EEENS2_IJS12_S10_SZ_EEENS8_IJLi3ELi4EEEElEEiEELb1EEEvPKT0_PKT1_T2_PT3_T4_T5_T6_T7_T8_T9_T10_T11_
	.p2align	8
	.type	_ZN2ck35kernel_gemm_multiple_d_xdl_cshuffleINS_34GridwiseGemmMultipleD_xdl_cshuffleIfffffNS_5TupleIJffEEEfNS_16tensor_operation12element_wise11PassThroughES6_NS5_14AddAddFastGeluELi1ELi256ELi256ELi128ELi32ELi8ELi8ELi16ELi16ELi8ELi4ENS_8SequenceIJLi4ELi64ELi1EEEENS8_IJLi1ELi0ELi2EEEESA_Li2ELi4ELi4ELb0ELi1ES9_SA_SA_Li2ELi4ELi4ELb0ELi1ELi1ELi1ENS8_IJLi1ELi32ELi1ELi8EEEELi2ELNS_13LoopSchedulerE0ELNS_15PipelineVersionE0EfLb0EEEffNS2_IJPKfSG_EEEfS6_S6_S7_NS_16TensorDescriptorINS2_IJNS_5EmbedINS2_IJiiEEENS2_IJiNS_17integral_constantIiLi1EEEEEELb0EEENS_11PassThroughIiEESQ_NS_7UnMergeINS2_IJiNSL_IiLi8EEEEEELb0EEESQ_EEENS2_IJNS8_IJLi0EEEENS8_IJLi1EEEENS8_IJLi2EEEENS8_IJLi4EEEENS8_IJLi3EEEEEEENS2_IJNS8_IJLi1ELi2EEEES10_SZ_NS8_IJLi5ELi6EEEENS8_IJLi7EEEEEEENS8_IJLi5ELi7ELi6EEEElEES17_NS2_IJNSI_INS2_IJSO_SQ_SQ_NSR_INS2_IJiNSL_IiLi256EEEEEELb0EEENSR_INS2_IJiNSL_IiLi128EEEEEELb0EEEEEENS2_IJSW_SX_SY_S10_SZ_EEENS2_IJS12_S10_SZ_S13_NS8_IJLi7ELi8EEEEEEENS8_IJLi5ELi6ELi7ELi8EEEElEES1J_EEES1J_NS_31BlockToCTileMap_M00_N0_M01AdaptILi256ELi128ENSI_INS2_IJSO_SQ_SQ_EEENS2_IJSW_SX_SY_EEENS2_IJS12_S10_SZ_EEENS8_IJLi3ELi4EEEElEEiEELb1EEEvPKT0_PKT1_T2_PT3_T4_T5_T6_T7_T8_T9_T10_T11_,@function
_ZN2ck35kernel_gemm_multiple_d_xdl_cshuffleINS_34GridwiseGemmMultipleD_xdl_cshuffleIfffffNS_5TupleIJffEEEfNS_16tensor_operation12element_wise11PassThroughES6_NS5_14AddAddFastGeluELi1ELi256ELi256ELi128ELi32ELi8ELi8ELi16ELi16ELi8ELi4ENS_8SequenceIJLi4ELi64ELi1EEEENS8_IJLi1ELi0ELi2EEEESA_Li2ELi4ELi4ELb0ELi1ES9_SA_SA_Li2ELi4ELi4ELb0ELi1ELi1ELi1ENS8_IJLi1ELi32ELi1ELi8EEEELi2ELNS_13LoopSchedulerE0ELNS_15PipelineVersionE0EfLb0EEEffNS2_IJPKfSG_EEEfS6_S6_S7_NS_16TensorDescriptorINS2_IJNS_5EmbedINS2_IJiiEEENS2_IJiNS_17integral_constantIiLi1EEEEEELb0EEENS_11PassThroughIiEESQ_NS_7UnMergeINS2_IJiNSL_IiLi8EEEEEELb0EEESQ_EEENS2_IJNS8_IJLi0EEEENS8_IJLi1EEEENS8_IJLi2EEEENS8_IJLi4EEEENS8_IJLi3EEEEEEENS2_IJNS8_IJLi1ELi2EEEES10_SZ_NS8_IJLi5ELi6EEEENS8_IJLi7EEEEEEENS8_IJLi5ELi7ELi6EEEElEES17_NS2_IJNSI_INS2_IJSO_SQ_SQ_NSR_INS2_IJiNSL_IiLi256EEEEEELb0EEENSR_INS2_IJiNSL_IiLi128EEEEEELb0EEEEEENS2_IJSW_SX_SY_S10_SZ_EEENS2_IJS12_S10_SZ_S13_NS8_IJLi7ELi8EEEEEEENS8_IJLi5ELi6ELi7ELi8EEEElEES1J_EEES1J_NS_31BlockToCTileMap_M00_N0_M01AdaptILi256ELi128ENSI_INS2_IJSO_SQ_SQ_EEENS2_IJSW_SX_SY_EEENS2_IJS12_S10_SZ_EEENS8_IJLi3ELi4EEEElEEiEELb1EEEvPKT0_PKT1_T2_PT3_T4_T5_T6_T7_T8_T9_T10_T11_: ; @_ZN2ck35kernel_gemm_multiple_d_xdl_cshuffleINS_34GridwiseGemmMultipleD_xdl_cshuffleIfffffNS_5TupleIJffEEEfNS_16tensor_operation12element_wise11PassThroughES6_NS5_14AddAddFastGeluELi1ELi256ELi256ELi128ELi32ELi8ELi8ELi16ELi16ELi8ELi4ENS_8SequenceIJLi4ELi64ELi1EEEENS8_IJLi1ELi0ELi2EEEESA_Li2ELi4ELi4ELb0ELi1ES9_SA_SA_Li2ELi4ELi4ELb0ELi1ELi1ELi1ENS8_IJLi1ELi32ELi1ELi8EEEELi2ELNS_13LoopSchedulerE0ELNS_15PipelineVersionE0EfLb0EEEffNS2_IJPKfSG_EEEfS6_S6_S7_NS_16TensorDescriptorINS2_IJNS_5EmbedINS2_IJiiEEENS2_IJiNS_17integral_constantIiLi1EEEEEELb0EEENS_11PassThroughIiEESQ_NS_7UnMergeINS2_IJiNSL_IiLi8EEEEEELb0EEESQ_EEENS2_IJNS8_IJLi0EEEENS8_IJLi1EEEENS8_IJLi2EEEENS8_IJLi4EEEENS8_IJLi3EEEEEEENS2_IJNS8_IJLi1ELi2EEEES10_SZ_NS8_IJLi5ELi6EEEENS8_IJLi7EEEEEEENS8_IJLi5ELi7ELi6EEEElEES17_NS2_IJNSI_INS2_IJSO_SQ_SQ_NSR_INS2_IJiNSL_IiLi256EEEEEELb0EEENSR_INS2_IJiNSL_IiLi128EEEEEELb0EEEEEENS2_IJSW_SX_SY_S10_SZ_EEENS2_IJS12_S10_SZ_S13_NS8_IJLi7ELi8EEEEEEENS8_IJLi5ELi6ELi7ELi8EEEElEES1J_EEES1J_NS_31BlockToCTileMap_M00_N0_M01AdaptILi256ELi128ENSI_INS2_IJSO_SQ_SQ_EEENS2_IJSW_SX_SY_EEENS2_IJS12_S10_SZ_EEENS8_IJLi3ELi4EEEElEEiEELb1EEEvPKT0_PKT1_T2_PT3_T4_T5_T6_T7_T8_T9_T10_T11_
; %bb.0:
	s_endpgm
	.section	.rodata,"a",@progbits
	.p2align	6, 0x0
	.amdhsa_kernel _ZN2ck35kernel_gemm_multiple_d_xdl_cshuffleINS_34GridwiseGemmMultipleD_xdl_cshuffleIfffffNS_5TupleIJffEEEfNS_16tensor_operation12element_wise11PassThroughES6_NS5_14AddAddFastGeluELi1ELi256ELi256ELi128ELi32ELi8ELi8ELi16ELi16ELi8ELi4ENS_8SequenceIJLi4ELi64ELi1EEEENS8_IJLi1ELi0ELi2EEEESA_Li2ELi4ELi4ELb0ELi1ES9_SA_SA_Li2ELi4ELi4ELb0ELi1ELi1ELi1ENS8_IJLi1ELi32ELi1ELi8EEEELi2ELNS_13LoopSchedulerE0ELNS_15PipelineVersionE0EfLb0EEEffNS2_IJPKfSG_EEEfS6_S6_S7_NS_16TensorDescriptorINS2_IJNS_5EmbedINS2_IJiiEEENS2_IJiNS_17integral_constantIiLi1EEEEEELb0EEENS_11PassThroughIiEESQ_NS_7UnMergeINS2_IJiNSL_IiLi8EEEEEELb0EEESQ_EEENS2_IJNS8_IJLi0EEEENS8_IJLi1EEEENS8_IJLi2EEEENS8_IJLi4EEEENS8_IJLi3EEEEEEENS2_IJNS8_IJLi1ELi2EEEES10_SZ_NS8_IJLi5ELi6EEEENS8_IJLi7EEEEEEENS8_IJLi5ELi7ELi6EEEElEES17_NS2_IJNSI_INS2_IJSO_SQ_SQ_NSR_INS2_IJiNSL_IiLi256EEEEEELb0EEENSR_INS2_IJiNSL_IiLi128EEEEEELb0EEEEEENS2_IJSW_SX_SY_S10_SZ_EEENS2_IJS12_S10_SZ_S13_NS8_IJLi7ELi8EEEEEEENS8_IJLi5ELi6ELi7ELi8EEEElEES1J_EEES1J_NS_31BlockToCTileMap_M00_N0_M01AdaptILi256ELi128ENSI_INS2_IJSO_SQ_SQ_EEENS2_IJSW_SX_SY_EEENS2_IJS12_S10_SZ_EEENS8_IJLi3ELi4EEEElEEiEELb1EEEvPKT0_PKT1_T2_PT3_T4_T5_T6_T7_T8_T9_T10_T11_
		.amdhsa_group_segment_fixed_size 0
		.amdhsa_private_segment_fixed_size 0
		.amdhsa_kernarg_size 364
		.amdhsa_user_sgpr_count 6
		.amdhsa_user_sgpr_private_segment_buffer 1
		.amdhsa_user_sgpr_dispatch_ptr 0
		.amdhsa_user_sgpr_queue_ptr 0
		.amdhsa_user_sgpr_kernarg_segment_ptr 1
		.amdhsa_user_sgpr_dispatch_id 0
		.amdhsa_user_sgpr_flat_scratch_init 0
		.amdhsa_user_sgpr_private_segment_size 0
		.amdhsa_uses_dynamic_stack 0
		.amdhsa_system_sgpr_private_segment_wavefront_offset 0
		.amdhsa_system_sgpr_workgroup_id_x 1
		.amdhsa_system_sgpr_workgroup_id_y 0
		.amdhsa_system_sgpr_workgroup_id_z 0
		.amdhsa_system_sgpr_workgroup_info 0
		.amdhsa_system_vgpr_workitem_id 0
		.amdhsa_next_free_vgpr 1
		.amdhsa_next_free_sgpr 0
		.amdhsa_reserve_vcc 0
		.amdhsa_reserve_flat_scratch 0
		.amdhsa_float_round_mode_32 0
		.amdhsa_float_round_mode_16_64 0
		.amdhsa_float_denorm_mode_32 3
		.amdhsa_float_denorm_mode_16_64 3
		.amdhsa_dx10_clamp 1
		.amdhsa_ieee_mode 1
		.amdhsa_fp16_overflow 0
		.amdhsa_exception_fp_ieee_invalid_op 0
		.amdhsa_exception_fp_denorm_src 0
		.amdhsa_exception_fp_ieee_div_zero 0
		.amdhsa_exception_fp_ieee_overflow 0
		.amdhsa_exception_fp_ieee_underflow 0
		.amdhsa_exception_fp_ieee_inexact 0
		.amdhsa_exception_int_div_zero 0
	.end_amdhsa_kernel
	.section	.text._ZN2ck35kernel_gemm_multiple_d_xdl_cshuffleINS_34GridwiseGemmMultipleD_xdl_cshuffleIfffffNS_5TupleIJffEEEfNS_16tensor_operation12element_wise11PassThroughES6_NS5_14AddAddFastGeluELi1ELi256ELi256ELi128ELi32ELi8ELi8ELi16ELi16ELi8ELi4ENS_8SequenceIJLi4ELi64ELi1EEEENS8_IJLi1ELi0ELi2EEEESA_Li2ELi4ELi4ELb0ELi1ES9_SA_SA_Li2ELi4ELi4ELb0ELi1ELi1ELi1ENS8_IJLi1ELi32ELi1ELi8EEEELi2ELNS_13LoopSchedulerE0ELNS_15PipelineVersionE0EfLb0EEEffNS2_IJPKfSG_EEEfS6_S6_S7_NS_16TensorDescriptorINS2_IJNS_5EmbedINS2_IJiiEEENS2_IJiNS_17integral_constantIiLi1EEEEEELb0EEENS_11PassThroughIiEESQ_NS_7UnMergeINS2_IJiNSL_IiLi8EEEEEELb0EEESQ_EEENS2_IJNS8_IJLi0EEEENS8_IJLi1EEEENS8_IJLi2EEEENS8_IJLi4EEEENS8_IJLi3EEEEEEENS2_IJNS8_IJLi1ELi2EEEES10_SZ_NS8_IJLi5ELi6EEEENS8_IJLi7EEEEEEENS8_IJLi5ELi7ELi6EEEElEES17_NS2_IJNSI_INS2_IJSO_SQ_SQ_NSR_INS2_IJiNSL_IiLi256EEEEEELb0EEENSR_INS2_IJiNSL_IiLi128EEEEEELb0EEEEEENS2_IJSW_SX_SY_S10_SZ_EEENS2_IJS12_S10_SZ_S13_NS8_IJLi7ELi8EEEEEEENS8_IJLi5ELi6ELi7ELi8EEEElEES1J_EEES1J_NS_31BlockToCTileMap_M00_N0_M01AdaptILi256ELi128ENSI_INS2_IJSO_SQ_SQ_EEENS2_IJSW_SX_SY_EEENS2_IJS12_S10_SZ_EEENS8_IJLi3ELi4EEEElEEiEELb1EEEvPKT0_PKT1_T2_PT3_T4_T5_T6_T7_T8_T9_T10_T11_,"axG",@progbits,_ZN2ck35kernel_gemm_multiple_d_xdl_cshuffleINS_34GridwiseGemmMultipleD_xdl_cshuffleIfffffNS_5TupleIJffEEEfNS_16tensor_operation12element_wise11PassThroughES6_NS5_14AddAddFastGeluELi1ELi256ELi256ELi128ELi32ELi8ELi8ELi16ELi16ELi8ELi4ENS_8SequenceIJLi4ELi64ELi1EEEENS8_IJLi1ELi0ELi2EEEESA_Li2ELi4ELi4ELb0ELi1ES9_SA_SA_Li2ELi4ELi4ELb0ELi1ELi1ELi1ENS8_IJLi1ELi32ELi1ELi8EEEELi2ELNS_13LoopSchedulerE0ELNS_15PipelineVersionE0EfLb0EEEffNS2_IJPKfSG_EEEfS6_S6_S7_NS_16TensorDescriptorINS2_IJNS_5EmbedINS2_IJiiEEENS2_IJiNS_17integral_constantIiLi1EEEEEELb0EEENS_11PassThroughIiEESQ_NS_7UnMergeINS2_IJiNSL_IiLi8EEEEEELb0EEESQ_EEENS2_IJNS8_IJLi0EEEENS8_IJLi1EEEENS8_IJLi2EEEENS8_IJLi4EEEENS8_IJLi3EEEEEEENS2_IJNS8_IJLi1ELi2EEEES10_SZ_NS8_IJLi5ELi6EEEENS8_IJLi7EEEEEEENS8_IJLi5ELi7ELi6EEEElEES17_NS2_IJNSI_INS2_IJSO_SQ_SQ_NSR_INS2_IJiNSL_IiLi256EEEEEELb0EEENSR_INS2_IJiNSL_IiLi128EEEEEELb0EEEEEENS2_IJSW_SX_SY_S10_SZ_EEENS2_IJS12_S10_SZ_S13_NS8_IJLi7ELi8EEEEEEENS8_IJLi5ELi6ELi7ELi8EEEElEES1J_EEES1J_NS_31BlockToCTileMap_M00_N0_M01AdaptILi256ELi128ENSI_INS2_IJSO_SQ_SQ_EEENS2_IJSW_SX_SY_EEENS2_IJS12_S10_SZ_EEENS8_IJLi3ELi4EEEElEEiEELb1EEEvPKT0_PKT1_T2_PT3_T4_T5_T6_T7_T8_T9_T10_T11_,comdat
.Lfunc_end1:
	.size	_ZN2ck35kernel_gemm_multiple_d_xdl_cshuffleINS_34GridwiseGemmMultipleD_xdl_cshuffleIfffffNS_5TupleIJffEEEfNS_16tensor_operation12element_wise11PassThroughES6_NS5_14AddAddFastGeluELi1ELi256ELi256ELi128ELi32ELi8ELi8ELi16ELi16ELi8ELi4ENS_8SequenceIJLi4ELi64ELi1EEEENS8_IJLi1ELi0ELi2EEEESA_Li2ELi4ELi4ELb0ELi1ES9_SA_SA_Li2ELi4ELi4ELb0ELi1ELi1ELi1ENS8_IJLi1ELi32ELi1ELi8EEEELi2ELNS_13LoopSchedulerE0ELNS_15PipelineVersionE0EfLb0EEEffNS2_IJPKfSG_EEEfS6_S6_S7_NS_16TensorDescriptorINS2_IJNS_5EmbedINS2_IJiiEEENS2_IJiNS_17integral_constantIiLi1EEEEEELb0EEENS_11PassThroughIiEESQ_NS_7UnMergeINS2_IJiNSL_IiLi8EEEEEELb0EEESQ_EEENS2_IJNS8_IJLi0EEEENS8_IJLi1EEEENS8_IJLi2EEEENS8_IJLi4EEEENS8_IJLi3EEEEEEENS2_IJNS8_IJLi1ELi2EEEES10_SZ_NS8_IJLi5ELi6EEEENS8_IJLi7EEEEEEENS8_IJLi5ELi7ELi6EEEElEES17_NS2_IJNSI_INS2_IJSO_SQ_SQ_NSR_INS2_IJiNSL_IiLi256EEEEEELb0EEENSR_INS2_IJiNSL_IiLi128EEEEEELb0EEEEEENS2_IJSW_SX_SY_S10_SZ_EEENS2_IJS12_S10_SZ_S13_NS8_IJLi7ELi8EEEEEEENS8_IJLi5ELi6ELi7ELi8EEEElEES1J_EEES1J_NS_31BlockToCTileMap_M00_N0_M01AdaptILi256ELi128ENSI_INS2_IJSO_SQ_SQ_EEENS2_IJSW_SX_SY_EEENS2_IJS12_S10_SZ_EEENS8_IJLi3ELi4EEEElEEiEELb1EEEvPKT0_PKT1_T2_PT3_T4_T5_T6_T7_T8_T9_T10_T11_, .Lfunc_end1-_ZN2ck35kernel_gemm_multiple_d_xdl_cshuffleINS_34GridwiseGemmMultipleD_xdl_cshuffleIfffffNS_5TupleIJffEEEfNS_16tensor_operation12element_wise11PassThroughES6_NS5_14AddAddFastGeluELi1ELi256ELi256ELi128ELi32ELi8ELi8ELi16ELi16ELi8ELi4ENS_8SequenceIJLi4ELi64ELi1EEEENS8_IJLi1ELi0ELi2EEEESA_Li2ELi4ELi4ELb0ELi1ES9_SA_SA_Li2ELi4ELi4ELb0ELi1ELi1ELi1ENS8_IJLi1ELi32ELi1ELi8EEEELi2ELNS_13LoopSchedulerE0ELNS_15PipelineVersionE0EfLb0EEEffNS2_IJPKfSG_EEEfS6_S6_S7_NS_16TensorDescriptorINS2_IJNS_5EmbedINS2_IJiiEEENS2_IJiNS_17integral_constantIiLi1EEEEEELb0EEENS_11PassThroughIiEESQ_NS_7UnMergeINS2_IJiNSL_IiLi8EEEEEELb0EEESQ_EEENS2_IJNS8_IJLi0EEEENS8_IJLi1EEEENS8_IJLi2EEEENS8_IJLi4EEEENS8_IJLi3EEEEEEENS2_IJNS8_IJLi1ELi2EEEES10_SZ_NS8_IJLi5ELi6EEEENS8_IJLi7EEEEEEENS8_IJLi5ELi7ELi6EEEElEES17_NS2_IJNSI_INS2_IJSO_SQ_SQ_NSR_INS2_IJiNSL_IiLi256EEEEEELb0EEENSR_INS2_IJiNSL_IiLi128EEEEEELb0EEEEEENS2_IJSW_SX_SY_S10_SZ_EEENS2_IJS12_S10_SZ_S13_NS8_IJLi7ELi8EEEEEEENS8_IJLi5ELi6ELi7ELi8EEEElEES1J_EEES1J_NS_31BlockToCTileMap_M00_N0_M01AdaptILi256ELi128ENSI_INS2_IJSO_SQ_SQ_EEENS2_IJSW_SX_SY_EEENS2_IJS12_S10_SZ_EEENS8_IJLi3ELi4EEEElEEiEELb1EEEvPKT0_PKT1_T2_PT3_T4_T5_T6_T7_T8_T9_T10_T11_
                                        ; -- End function
	.set _ZN2ck35kernel_gemm_multiple_d_xdl_cshuffleINS_34GridwiseGemmMultipleD_xdl_cshuffleIfffffNS_5TupleIJffEEEfNS_16tensor_operation12element_wise11PassThroughES6_NS5_14AddAddFastGeluELi1ELi256ELi256ELi128ELi32ELi8ELi8ELi16ELi16ELi8ELi4ENS_8SequenceIJLi4ELi64ELi1EEEENS8_IJLi1ELi0ELi2EEEESA_Li2ELi4ELi4ELb0ELi1ES9_SA_SA_Li2ELi4ELi4ELb0ELi1ELi1ELi1ENS8_IJLi1ELi32ELi1ELi8EEEELi2ELNS_13LoopSchedulerE0ELNS_15PipelineVersionE0EfLb0EEEffNS2_IJPKfSG_EEEfS6_S6_S7_NS_16TensorDescriptorINS2_IJNS_5EmbedINS2_IJiiEEENS2_IJiNS_17integral_constantIiLi1EEEEEELb0EEENS_11PassThroughIiEESQ_NS_7UnMergeINS2_IJiNSL_IiLi8EEEEEELb0EEESQ_EEENS2_IJNS8_IJLi0EEEENS8_IJLi1EEEENS8_IJLi2EEEENS8_IJLi4EEEENS8_IJLi3EEEEEEENS2_IJNS8_IJLi1ELi2EEEES10_SZ_NS8_IJLi5ELi6EEEENS8_IJLi7EEEEEEENS8_IJLi5ELi7ELi6EEEElEES17_NS2_IJNSI_INS2_IJSO_SQ_SQ_NSR_INS2_IJiNSL_IiLi256EEEEEELb0EEENSR_INS2_IJiNSL_IiLi128EEEEEELb0EEEEEENS2_IJSW_SX_SY_S10_SZ_EEENS2_IJS12_S10_SZ_S13_NS8_IJLi7ELi8EEEEEEENS8_IJLi5ELi6ELi7ELi8EEEElEES1J_EEES1J_NS_31BlockToCTileMap_M00_N0_M01AdaptILi256ELi128ENSI_INS2_IJSO_SQ_SQ_EEENS2_IJSW_SX_SY_EEENS2_IJS12_S10_SZ_EEENS8_IJLi3ELi4EEEElEEiEELb1EEEvPKT0_PKT1_T2_PT3_T4_T5_T6_T7_T8_T9_T10_T11_.num_vgpr, 0
	.set _ZN2ck35kernel_gemm_multiple_d_xdl_cshuffleINS_34GridwiseGemmMultipleD_xdl_cshuffleIfffffNS_5TupleIJffEEEfNS_16tensor_operation12element_wise11PassThroughES6_NS5_14AddAddFastGeluELi1ELi256ELi256ELi128ELi32ELi8ELi8ELi16ELi16ELi8ELi4ENS_8SequenceIJLi4ELi64ELi1EEEENS8_IJLi1ELi0ELi2EEEESA_Li2ELi4ELi4ELb0ELi1ES9_SA_SA_Li2ELi4ELi4ELb0ELi1ELi1ELi1ENS8_IJLi1ELi32ELi1ELi8EEEELi2ELNS_13LoopSchedulerE0ELNS_15PipelineVersionE0EfLb0EEEffNS2_IJPKfSG_EEEfS6_S6_S7_NS_16TensorDescriptorINS2_IJNS_5EmbedINS2_IJiiEEENS2_IJiNS_17integral_constantIiLi1EEEEEELb0EEENS_11PassThroughIiEESQ_NS_7UnMergeINS2_IJiNSL_IiLi8EEEEEELb0EEESQ_EEENS2_IJNS8_IJLi0EEEENS8_IJLi1EEEENS8_IJLi2EEEENS8_IJLi4EEEENS8_IJLi3EEEEEEENS2_IJNS8_IJLi1ELi2EEEES10_SZ_NS8_IJLi5ELi6EEEENS8_IJLi7EEEEEEENS8_IJLi5ELi7ELi6EEEElEES17_NS2_IJNSI_INS2_IJSO_SQ_SQ_NSR_INS2_IJiNSL_IiLi256EEEEEELb0EEENSR_INS2_IJiNSL_IiLi128EEEEEELb0EEEEEENS2_IJSW_SX_SY_S10_SZ_EEENS2_IJS12_S10_SZ_S13_NS8_IJLi7ELi8EEEEEEENS8_IJLi5ELi6ELi7ELi8EEEElEES1J_EEES1J_NS_31BlockToCTileMap_M00_N0_M01AdaptILi256ELi128ENSI_INS2_IJSO_SQ_SQ_EEENS2_IJSW_SX_SY_EEENS2_IJS12_S10_SZ_EEENS8_IJLi3ELi4EEEElEEiEELb1EEEvPKT0_PKT1_T2_PT3_T4_T5_T6_T7_T8_T9_T10_T11_.num_agpr, 0
	.set _ZN2ck35kernel_gemm_multiple_d_xdl_cshuffleINS_34GridwiseGemmMultipleD_xdl_cshuffleIfffffNS_5TupleIJffEEEfNS_16tensor_operation12element_wise11PassThroughES6_NS5_14AddAddFastGeluELi1ELi256ELi256ELi128ELi32ELi8ELi8ELi16ELi16ELi8ELi4ENS_8SequenceIJLi4ELi64ELi1EEEENS8_IJLi1ELi0ELi2EEEESA_Li2ELi4ELi4ELb0ELi1ES9_SA_SA_Li2ELi4ELi4ELb0ELi1ELi1ELi1ENS8_IJLi1ELi32ELi1ELi8EEEELi2ELNS_13LoopSchedulerE0ELNS_15PipelineVersionE0EfLb0EEEffNS2_IJPKfSG_EEEfS6_S6_S7_NS_16TensorDescriptorINS2_IJNS_5EmbedINS2_IJiiEEENS2_IJiNS_17integral_constantIiLi1EEEEEELb0EEENS_11PassThroughIiEESQ_NS_7UnMergeINS2_IJiNSL_IiLi8EEEEEELb0EEESQ_EEENS2_IJNS8_IJLi0EEEENS8_IJLi1EEEENS8_IJLi2EEEENS8_IJLi4EEEENS8_IJLi3EEEEEEENS2_IJNS8_IJLi1ELi2EEEES10_SZ_NS8_IJLi5ELi6EEEENS8_IJLi7EEEEEEENS8_IJLi5ELi7ELi6EEEElEES17_NS2_IJNSI_INS2_IJSO_SQ_SQ_NSR_INS2_IJiNSL_IiLi256EEEEEELb0EEENSR_INS2_IJiNSL_IiLi128EEEEEELb0EEEEEENS2_IJSW_SX_SY_S10_SZ_EEENS2_IJS12_S10_SZ_S13_NS8_IJLi7ELi8EEEEEEENS8_IJLi5ELi6ELi7ELi8EEEElEES1J_EEES1J_NS_31BlockToCTileMap_M00_N0_M01AdaptILi256ELi128ENSI_INS2_IJSO_SQ_SQ_EEENS2_IJSW_SX_SY_EEENS2_IJS12_S10_SZ_EEENS8_IJLi3ELi4EEEElEEiEELb1EEEvPKT0_PKT1_T2_PT3_T4_T5_T6_T7_T8_T9_T10_T11_.numbered_sgpr, 0
	.set _ZN2ck35kernel_gemm_multiple_d_xdl_cshuffleINS_34GridwiseGemmMultipleD_xdl_cshuffleIfffffNS_5TupleIJffEEEfNS_16tensor_operation12element_wise11PassThroughES6_NS5_14AddAddFastGeluELi1ELi256ELi256ELi128ELi32ELi8ELi8ELi16ELi16ELi8ELi4ENS_8SequenceIJLi4ELi64ELi1EEEENS8_IJLi1ELi0ELi2EEEESA_Li2ELi4ELi4ELb0ELi1ES9_SA_SA_Li2ELi4ELi4ELb0ELi1ELi1ELi1ENS8_IJLi1ELi32ELi1ELi8EEEELi2ELNS_13LoopSchedulerE0ELNS_15PipelineVersionE0EfLb0EEEffNS2_IJPKfSG_EEEfS6_S6_S7_NS_16TensorDescriptorINS2_IJNS_5EmbedINS2_IJiiEEENS2_IJiNS_17integral_constantIiLi1EEEEEELb0EEENS_11PassThroughIiEESQ_NS_7UnMergeINS2_IJiNSL_IiLi8EEEEEELb0EEESQ_EEENS2_IJNS8_IJLi0EEEENS8_IJLi1EEEENS8_IJLi2EEEENS8_IJLi4EEEENS8_IJLi3EEEEEEENS2_IJNS8_IJLi1ELi2EEEES10_SZ_NS8_IJLi5ELi6EEEENS8_IJLi7EEEEEEENS8_IJLi5ELi7ELi6EEEElEES17_NS2_IJNSI_INS2_IJSO_SQ_SQ_NSR_INS2_IJiNSL_IiLi256EEEEEELb0EEENSR_INS2_IJiNSL_IiLi128EEEEEELb0EEEEEENS2_IJSW_SX_SY_S10_SZ_EEENS2_IJS12_S10_SZ_S13_NS8_IJLi7ELi8EEEEEEENS8_IJLi5ELi6ELi7ELi8EEEElEES1J_EEES1J_NS_31BlockToCTileMap_M00_N0_M01AdaptILi256ELi128ENSI_INS2_IJSO_SQ_SQ_EEENS2_IJSW_SX_SY_EEENS2_IJS12_S10_SZ_EEENS8_IJLi3ELi4EEEElEEiEELb1EEEvPKT0_PKT1_T2_PT3_T4_T5_T6_T7_T8_T9_T10_T11_.num_named_barrier, 0
	.set _ZN2ck35kernel_gemm_multiple_d_xdl_cshuffleINS_34GridwiseGemmMultipleD_xdl_cshuffleIfffffNS_5TupleIJffEEEfNS_16tensor_operation12element_wise11PassThroughES6_NS5_14AddAddFastGeluELi1ELi256ELi256ELi128ELi32ELi8ELi8ELi16ELi16ELi8ELi4ENS_8SequenceIJLi4ELi64ELi1EEEENS8_IJLi1ELi0ELi2EEEESA_Li2ELi4ELi4ELb0ELi1ES9_SA_SA_Li2ELi4ELi4ELb0ELi1ELi1ELi1ENS8_IJLi1ELi32ELi1ELi8EEEELi2ELNS_13LoopSchedulerE0ELNS_15PipelineVersionE0EfLb0EEEffNS2_IJPKfSG_EEEfS6_S6_S7_NS_16TensorDescriptorINS2_IJNS_5EmbedINS2_IJiiEEENS2_IJiNS_17integral_constantIiLi1EEEEEELb0EEENS_11PassThroughIiEESQ_NS_7UnMergeINS2_IJiNSL_IiLi8EEEEEELb0EEESQ_EEENS2_IJNS8_IJLi0EEEENS8_IJLi1EEEENS8_IJLi2EEEENS8_IJLi4EEEENS8_IJLi3EEEEEEENS2_IJNS8_IJLi1ELi2EEEES10_SZ_NS8_IJLi5ELi6EEEENS8_IJLi7EEEEEEENS8_IJLi5ELi7ELi6EEEElEES17_NS2_IJNSI_INS2_IJSO_SQ_SQ_NSR_INS2_IJiNSL_IiLi256EEEEEELb0EEENSR_INS2_IJiNSL_IiLi128EEEEEELb0EEEEEENS2_IJSW_SX_SY_S10_SZ_EEENS2_IJS12_S10_SZ_S13_NS8_IJLi7ELi8EEEEEEENS8_IJLi5ELi6ELi7ELi8EEEElEES1J_EEES1J_NS_31BlockToCTileMap_M00_N0_M01AdaptILi256ELi128ENSI_INS2_IJSO_SQ_SQ_EEENS2_IJSW_SX_SY_EEENS2_IJS12_S10_SZ_EEENS8_IJLi3ELi4EEEElEEiEELb1EEEvPKT0_PKT1_T2_PT3_T4_T5_T6_T7_T8_T9_T10_T11_.private_seg_size, 0
	.set _ZN2ck35kernel_gemm_multiple_d_xdl_cshuffleINS_34GridwiseGemmMultipleD_xdl_cshuffleIfffffNS_5TupleIJffEEEfNS_16tensor_operation12element_wise11PassThroughES6_NS5_14AddAddFastGeluELi1ELi256ELi256ELi128ELi32ELi8ELi8ELi16ELi16ELi8ELi4ENS_8SequenceIJLi4ELi64ELi1EEEENS8_IJLi1ELi0ELi2EEEESA_Li2ELi4ELi4ELb0ELi1ES9_SA_SA_Li2ELi4ELi4ELb0ELi1ELi1ELi1ENS8_IJLi1ELi32ELi1ELi8EEEELi2ELNS_13LoopSchedulerE0ELNS_15PipelineVersionE0EfLb0EEEffNS2_IJPKfSG_EEEfS6_S6_S7_NS_16TensorDescriptorINS2_IJNS_5EmbedINS2_IJiiEEENS2_IJiNS_17integral_constantIiLi1EEEEEELb0EEENS_11PassThroughIiEESQ_NS_7UnMergeINS2_IJiNSL_IiLi8EEEEEELb0EEESQ_EEENS2_IJNS8_IJLi0EEEENS8_IJLi1EEEENS8_IJLi2EEEENS8_IJLi4EEEENS8_IJLi3EEEEEEENS2_IJNS8_IJLi1ELi2EEEES10_SZ_NS8_IJLi5ELi6EEEENS8_IJLi7EEEEEEENS8_IJLi5ELi7ELi6EEEElEES17_NS2_IJNSI_INS2_IJSO_SQ_SQ_NSR_INS2_IJiNSL_IiLi256EEEEEELb0EEENSR_INS2_IJiNSL_IiLi128EEEEEELb0EEEEEENS2_IJSW_SX_SY_S10_SZ_EEENS2_IJS12_S10_SZ_S13_NS8_IJLi7ELi8EEEEEEENS8_IJLi5ELi6ELi7ELi8EEEElEES1J_EEES1J_NS_31BlockToCTileMap_M00_N0_M01AdaptILi256ELi128ENSI_INS2_IJSO_SQ_SQ_EEENS2_IJSW_SX_SY_EEENS2_IJS12_S10_SZ_EEENS8_IJLi3ELi4EEEElEEiEELb1EEEvPKT0_PKT1_T2_PT3_T4_T5_T6_T7_T8_T9_T10_T11_.uses_vcc, 0
	.set _ZN2ck35kernel_gemm_multiple_d_xdl_cshuffleINS_34GridwiseGemmMultipleD_xdl_cshuffleIfffffNS_5TupleIJffEEEfNS_16tensor_operation12element_wise11PassThroughES6_NS5_14AddAddFastGeluELi1ELi256ELi256ELi128ELi32ELi8ELi8ELi16ELi16ELi8ELi4ENS_8SequenceIJLi4ELi64ELi1EEEENS8_IJLi1ELi0ELi2EEEESA_Li2ELi4ELi4ELb0ELi1ES9_SA_SA_Li2ELi4ELi4ELb0ELi1ELi1ELi1ENS8_IJLi1ELi32ELi1ELi8EEEELi2ELNS_13LoopSchedulerE0ELNS_15PipelineVersionE0EfLb0EEEffNS2_IJPKfSG_EEEfS6_S6_S7_NS_16TensorDescriptorINS2_IJNS_5EmbedINS2_IJiiEEENS2_IJiNS_17integral_constantIiLi1EEEEEELb0EEENS_11PassThroughIiEESQ_NS_7UnMergeINS2_IJiNSL_IiLi8EEEEEELb0EEESQ_EEENS2_IJNS8_IJLi0EEEENS8_IJLi1EEEENS8_IJLi2EEEENS8_IJLi4EEEENS8_IJLi3EEEEEEENS2_IJNS8_IJLi1ELi2EEEES10_SZ_NS8_IJLi5ELi6EEEENS8_IJLi7EEEEEEENS8_IJLi5ELi7ELi6EEEElEES17_NS2_IJNSI_INS2_IJSO_SQ_SQ_NSR_INS2_IJiNSL_IiLi256EEEEEELb0EEENSR_INS2_IJiNSL_IiLi128EEEEEELb0EEEEEENS2_IJSW_SX_SY_S10_SZ_EEENS2_IJS12_S10_SZ_S13_NS8_IJLi7ELi8EEEEEEENS8_IJLi5ELi6ELi7ELi8EEEElEES1J_EEES1J_NS_31BlockToCTileMap_M00_N0_M01AdaptILi256ELi128ENSI_INS2_IJSO_SQ_SQ_EEENS2_IJSW_SX_SY_EEENS2_IJS12_S10_SZ_EEENS8_IJLi3ELi4EEEElEEiEELb1EEEvPKT0_PKT1_T2_PT3_T4_T5_T6_T7_T8_T9_T10_T11_.uses_flat_scratch, 0
	.set _ZN2ck35kernel_gemm_multiple_d_xdl_cshuffleINS_34GridwiseGemmMultipleD_xdl_cshuffleIfffffNS_5TupleIJffEEEfNS_16tensor_operation12element_wise11PassThroughES6_NS5_14AddAddFastGeluELi1ELi256ELi256ELi128ELi32ELi8ELi8ELi16ELi16ELi8ELi4ENS_8SequenceIJLi4ELi64ELi1EEEENS8_IJLi1ELi0ELi2EEEESA_Li2ELi4ELi4ELb0ELi1ES9_SA_SA_Li2ELi4ELi4ELb0ELi1ELi1ELi1ENS8_IJLi1ELi32ELi1ELi8EEEELi2ELNS_13LoopSchedulerE0ELNS_15PipelineVersionE0EfLb0EEEffNS2_IJPKfSG_EEEfS6_S6_S7_NS_16TensorDescriptorINS2_IJNS_5EmbedINS2_IJiiEEENS2_IJiNS_17integral_constantIiLi1EEEEEELb0EEENS_11PassThroughIiEESQ_NS_7UnMergeINS2_IJiNSL_IiLi8EEEEEELb0EEESQ_EEENS2_IJNS8_IJLi0EEEENS8_IJLi1EEEENS8_IJLi2EEEENS8_IJLi4EEEENS8_IJLi3EEEEEEENS2_IJNS8_IJLi1ELi2EEEES10_SZ_NS8_IJLi5ELi6EEEENS8_IJLi7EEEEEEENS8_IJLi5ELi7ELi6EEEElEES17_NS2_IJNSI_INS2_IJSO_SQ_SQ_NSR_INS2_IJiNSL_IiLi256EEEEEELb0EEENSR_INS2_IJiNSL_IiLi128EEEEEELb0EEEEEENS2_IJSW_SX_SY_S10_SZ_EEENS2_IJS12_S10_SZ_S13_NS8_IJLi7ELi8EEEEEEENS8_IJLi5ELi6ELi7ELi8EEEElEES1J_EEES1J_NS_31BlockToCTileMap_M00_N0_M01AdaptILi256ELi128ENSI_INS2_IJSO_SQ_SQ_EEENS2_IJSW_SX_SY_EEENS2_IJS12_S10_SZ_EEENS8_IJLi3ELi4EEEElEEiEELb1EEEvPKT0_PKT1_T2_PT3_T4_T5_T6_T7_T8_T9_T10_T11_.has_dyn_sized_stack, 0
	.set _ZN2ck35kernel_gemm_multiple_d_xdl_cshuffleINS_34GridwiseGemmMultipleD_xdl_cshuffleIfffffNS_5TupleIJffEEEfNS_16tensor_operation12element_wise11PassThroughES6_NS5_14AddAddFastGeluELi1ELi256ELi256ELi128ELi32ELi8ELi8ELi16ELi16ELi8ELi4ENS_8SequenceIJLi4ELi64ELi1EEEENS8_IJLi1ELi0ELi2EEEESA_Li2ELi4ELi4ELb0ELi1ES9_SA_SA_Li2ELi4ELi4ELb0ELi1ELi1ELi1ENS8_IJLi1ELi32ELi1ELi8EEEELi2ELNS_13LoopSchedulerE0ELNS_15PipelineVersionE0EfLb0EEEffNS2_IJPKfSG_EEEfS6_S6_S7_NS_16TensorDescriptorINS2_IJNS_5EmbedINS2_IJiiEEENS2_IJiNS_17integral_constantIiLi1EEEEEELb0EEENS_11PassThroughIiEESQ_NS_7UnMergeINS2_IJiNSL_IiLi8EEEEEELb0EEESQ_EEENS2_IJNS8_IJLi0EEEENS8_IJLi1EEEENS8_IJLi2EEEENS8_IJLi4EEEENS8_IJLi3EEEEEEENS2_IJNS8_IJLi1ELi2EEEES10_SZ_NS8_IJLi5ELi6EEEENS8_IJLi7EEEEEEENS8_IJLi5ELi7ELi6EEEElEES17_NS2_IJNSI_INS2_IJSO_SQ_SQ_NSR_INS2_IJiNSL_IiLi256EEEEEELb0EEENSR_INS2_IJiNSL_IiLi128EEEEEELb0EEEEEENS2_IJSW_SX_SY_S10_SZ_EEENS2_IJS12_S10_SZ_S13_NS8_IJLi7ELi8EEEEEEENS8_IJLi5ELi6ELi7ELi8EEEElEES1J_EEES1J_NS_31BlockToCTileMap_M00_N0_M01AdaptILi256ELi128ENSI_INS2_IJSO_SQ_SQ_EEENS2_IJSW_SX_SY_EEENS2_IJS12_S10_SZ_EEENS8_IJLi3ELi4EEEElEEiEELb1EEEvPKT0_PKT1_T2_PT3_T4_T5_T6_T7_T8_T9_T10_T11_.has_recursion, 0
	.set _ZN2ck35kernel_gemm_multiple_d_xdl_cshuffleINS_34GridwiseGemmMultipleD_xdl_cshuffleIfffffNS_5TupleIJffEEEfNS_16tensor_operation12element_wise11PassThroughES6_NS5_14AddAddFastGeluELi1ELi256ELi256ELi128ELi32ELi8ELi8ELi16ELi16ELi8ELi4ENS_8SequenceIJLi4ELi64ELi1EEEENS8_IJLi1ELi0ELi2EEEESA_Li2ELi4ELi4ELb0ELi1ES9_SA_SA_Li2ELi4ELi4ELb0ELi1ELi1ELi1ENS8_IJLi1ELi32ELi1ELi8EEEELi2ELNS_13LoopSchedulerE0ELNS_15PipelineVersionE0EfLb0EEEffNS2_IJPKfSG_EEEfS6_S6_S7_NS_16TensorDescriptorINS2_IJNS_5EmbedINS2_IJiiEEENS2_IJiNS_17integral_constantIiLi1EEEEEELb0EEENS_11PassThroughIiEESQ_NS_7UnMergeINS2_IJiNSL_IiLi8EEEEEELb0EEESQ_EEENS2_IJNS8_IJLi0EEEENS8_IJLi1EEEENS8_IJLi2EEEENS8_IJLi4EEEENS8_IJLi3EEEEEEENS2_IJNS8_IJLi1ELi2EEEES10_SZ_NS8_IJLi5ELi6EEEENS8_IJLi7EEEEEEENS8_IJLi5ELi7ELi6EEEElEES17_NS2_IJNSI_INS2_IJSO_SQ_SQ_NSR_INS2_IJiNSL_IiLi256EEEEEELb0EEENSR_INS2_IJiNSL_IiLi128EEEEEELb0EEEEEENS2_IJSW_SX_SY_S10_SZ_EEENS2_IJS12_S10_SZ_S13_NS8_IJLi7ELi8EEEEEEENS8_IJLi5ELi6ELi7ELi8EEEElEES1J_EEES1J_NS_31BlockToCTileMap_M00_N0_M01AdaptILi256ELi128ENSI_INS2_IJSO_SQ_SQ_EEENS2_IJSW_SX_SY_EEENS2_IJS12_S10_SZ_EEENS8_IJLi3ELi4EEEElEEiEELb1EEEvPKT0_PKT1_T2_PT3_T4_T5_T6_T7_T8_T9_T10_T11_.has_indirect_call, 0
	.section	.AMDGPU.csdata,"",@progbits
; Kernel info:
; codeLenInByte = 4
; TotalNumSgprs: 4
; NumVgprs: 0
; ScratchSize: 0
; MemoryBound: 0
; FloatMode: 240
; IeeeMode: 1
; LDSByteSize: 0 bytes/workgroup (compile time only)
; SGPRBlocks: 0
; VGPRBlocks: 0
; NumSGPRsForWavesPerEU: 4
; NumVGPRsForWavesPerEU: 1
; Occupancy: 10
; WaveLimiterHint : 0
; COMPUTE_PGM_RSRC2:SCRATCH_EN: 0
; COMPUTE_PGM_RSRC2:USER_SGPR: 6
; COMPUTE_PGM_RSRC2:TRAP_HANDLER: 0
; COMPUTE_PGM_RSRC2:TGID_X_EN: 1
; COMPUTE_PGM_RSRC2:TGID_Y_EN: 0
; COMPUTE_PGM_RSRC2:TGID_Z_EN: 0
; COMPUTE_PGM_RSRC2:TIDIG_COMP_CNT: 0
	.section	.text._ZN2ck35kernel_gemm_multiple_d_xdl_cshuffleINS_34GridwiseGemmMultipleD_xdl_cshuffleIfffffNS_5TupleIJffEEEfNS_16tensor_operation12element_wise11PassThroughES6_NS5_14AddAddFastGeluELi1ELi256ELi256ELi128ELi32ELi8ELi8ELi16ELi16ELi8ELi4ENS_8SequenceIJLi4ELi64ELi1EEEENS8_IJLi1ELi0ELi2EEEESA_Li2ELi4ELi4ELb0ELi1ES9_SA_SA_Li2ELi4ELi4ELb0ELi1ELi1ELi1ENS8_IJLi1ELi32ELi1ELi8EEEELi2ELNS_13LoopSchedulerE0ELNS_15PipelineVersionE0EfLb0EEEffNS2_IJPKfSG_EEEfS6_S6_S7_NS_16TensorDescriptorINS2_IJNS_5EmbedINS2_IJiiEEENS2_IJiNS_17integral_constantIiLi1EEEEEELb0EEENS_11PassThroughIiEESQ_NS_7UnMergeINS2_IJiNSL_IiLi8EEEEEELb0EEESQ_EEENS2_IJNS8_IJLi0EEEENS8_IJLi1EEEENS8_IJLi2EEEENS8_IJLi4EEEENS8_IJLi3EEEEEEENS2_IJNS8_IJLi1ELi2EEEES10_SZ_NS8_IJLi5ELi6EEEENS8_IJLi7EEEEEEENS8_IJLi5ELi7ELi6EEEElEES17_NS2_IJNSI_INS2_IJSO_SQ_SQ_NSR_INS2_IJiNSL_IiLi256EEEEEELb0EEENSR_INS2_IJiNSL_IiLi128EEEEEELb0EEEEEENS2_IJSW_SX_SY_S10_SZ_EEENS2_IJS12_S10_SZ_S13_NS8_IJLi7ELi8EEEEEEENS8_IJLi5ELi6ELi7ELi8EEEElEES1J_EEES1J_NS_31BlockToCTileMap_M00_N0_M01AdaptILi256ELi128ENSI_INS2_IJSO_SQ_SQ_EEENS2_IJSW_SX_SY_EEENS2_IJS12_S10_SZ_EEENS8_IJLi3ELi4EEEElEEiEELb0EEEvPKT0_PKT1_T2_PT3_T4_T5_T6_T7_T8_T9_T10_T11_,"axG",@progbits,_ZN2ck35kernel_gemm_multiple_d_xdl_cshuffleINS_34GridwiseGemmMultipleD_xdl_cshuffleIfffffNS_5TupleIJffEEEfNS_16tensor_operation12element_wise11PassThroughES6_NS5_14AddAddFastGeluELi1ELi256ELi256ELi128ELi32ELi8ELi8ELi16ELi16ELi8ELi4ENS_8SequenceIJLi4ELi64ELi1EEEENS8_IJLi1ELi0ELi2EEEESA_Li2ELi4ELi4ELb0ELi1ES9_SA_SA_Li2ELi4ELi4ELb0ELi1ELi1ELi1ENS8_IJLi1ELi32ELi1ELi8EEEELi2ELNS_13LoopSchedulerE0ELNS_15PipelineVersionE0EfLb0EEEffNS2_IJPKfSG_EEEfS6_S6_S7_NS_16TensorDescriptorINS2_IJNS_5EmbedINS2_IJiiEEENS2_IJiNS_17integral_constantIiLi1EEEEEELb0EEENS_11PassThroughIiEESQ_NS_7UnMergeINS2_IJiNSL_IiLi8EEEEEELb0EEESQ_EEENS2_IJNS8_IJLi0EEEENS8_IJLi1EEEENS8_IJLi2EEEENS8_IJLi4EEEENS8_IJLi3EEEEEEENS2_IJNS8_IJLi1ELi2EEEES10_SZ_NS8_IJLi5ELi6EEEENS8_IJLi7EEEEEEENS8_IJLi5ELi7ELi6EEEElEES17_NS2_IJNSI_INS2_IJSO_SQ_SQ_NSR_INS2_IJiNSL_IiLi256EEEEEELb0EEENSR_INS2_IJiNSL_IiLi128EEEEEELb0EEEEEENS2_IJSW_SX_SY_S10_SZ_EEENS2_IJS12_S10_SZ_S13_NS8_IJLi7ELi8EEEEEEENS8_IJLi5ELi6ELi7ELi8EEEElEES1J_EEES1J_NS_31BlockToCTileMap_M00_N0_M01AdaptILi256ELi128ENSI_INS2_IJSO_SQ_SQ_EEENS2_IJSW_SX_SY_EEENS2_IJS12_S10_SZ_EEENS8_IJLi3ELi4EEEElEEiEELb0EEEvPKT0_PKT1_T2_PT3_T4_T5_T6_T7_T8_T9_T10_T11_,comdat
	.protected	_ZN2ck35kernel_gemm_multiple_d_xdl_cshuffleINS_34GridwiseGemmMultipleD_xdl_cshuffleIfffffNS_5TupleIJffEEEfNS_16tensor_operation12element_wise11PassThroughES6_NS5_14AddAddFastGeluELi1ELi256ELi256ELi128ELi32ELi8ELi8ELi16ELi16ELi8ELi4ENS_8SequenceIJLi4ELi64ELi1EEEENS8_IJLi1ELi0ELi2EEEESA_Li2ELi4ELi4ELb0ELi1ES9_SA_SA_Li2ELi4ELi4ELb0ELi1ELi1ELi1ENS8_IJLi1ELi32ELi1ELi8EEEELi2ELNS_13LoopSchedulerE0ELNS_15PipelineVersionE0EfLb0EEEffNS2_IJPKfSG_EEEfS6_S6_S7_NS_16TensorDescriptorINS2_IJNS_5EmbedINS2_IJiiEEENS2_IJiNS_17integral_constantIiLi1EEEEEELb0EEENS_11PassThroughIiEESQ_NS_7UnMergeINS2_IJiNSL_IiLi8EEEEEELb0EEESQ_EEENS2_IJNS8_IJLi0EEEENS8_IJLi1EEEENS8_IJLi2EEEENS8_IJLi4EEEENS8_IJLi3EEEEEEENS2_IJNS8_IJLi1ELi2EEEES10_SZ_NS8_IJLi5ELi6EEEENS8_IJLi7EEEEEEENS8_IJLi5ELi7ELi6EEEElEES17_NS2_IJNSI_INS2_IJSO_SQ_SQ_NSR_INS2_IJiNSL_IiLi256EEEEEELb0EEENSR_INS2_IJiNSL_IiLi128EEEEEELb0EEEEEENS2_IJSW_SX_SY_S10_SZ_EEENS2_IJS12_S10_SZ_S13_NS8_IJLi7ELi8EEEEEEENS8_IJLi5ELi6ELi7ELi8EEEElEES1J_EEES1J_NS_31BlockToCTileMap_M00_N0_M01AdaptILi256ELi128ENSI_INS2_IJSO_SQ_SQ_EEENS2_IJSW_SX_SY_EEENS2_IJS12_S10_SZ_EEENS8_IJLi3ELi4EEEElEEiEELb0EEEvPKT0_PKT1_T2_PT3_T4_T5_T6_T7_T8_T9_T10_T11_ ; -- Begin function _ZN2ck35kernel_gemm_multiple_d_xdl_cshuffleINS_34GridwiseGemmMultipleD_xdl_cshuffleIfffffNS_5TupleIJffEEEfNS_16tensor_operation12element_wise11PassThroughES6_NS5_14AddAddFastGeluELi1ELi256ELi256ELi128ELi32ELi8ELi8ELi16ELi16ELi8ELi4ENS_8SequenceIJLi4ELi64ELi1EEEENS8_IJLi1ELi0ELi2EEEESA_Li2ELi4ELi4ELb0ELi1ES9_SA_SA_Li2ELi4ELi4ELb0ELi1ELi1ELi1ENS8_IJLi1ELi32ELi1ELi8EEEELi2ELNS_13LoopSchedulerE0ELNS_15PipelineVersionE0EfLb0EEEffNS2_IJPKfSG_EEEfS6_S6_S7_NS_16TensorDescriptorINS2_IJNS_5EmbedINS2_IJiiEEENS2_IJiNS_17integral_constantIiLi1EEEEEELb0EEENS_11PassThroughIiEESQ_NS_7UnMergeINS2_IJiNSL_IiLi8EEEEEELb0EEESQ_EEENS2_IJNS8_IJLi0EEEENS8_IJLi1EEEENS8_IJLi2EEEENS8_IJLi4EEEENS8_IJLi3EEEEEEENS2_IJNS8_IJLi1ELi2EEEES10_SZ_NS8_IJLi5ELi6EEEENS8_IJLi7EEEEEEENS8_IJLi5ELi7ELi6EEEElEES17_NS2_IJNSI_INS2_IJSO_SQ_SQ_NSR_INS2_IJiNSL_IiLi256EEEEEELb0EEENSR_INS2_IJiNSL_IiLi128EEEEEELb0EEEEEENS2_IJSW_SX_SY_S10_SZ_EEENS2_IJS12_S10_SZ_S13_NS8_IJLi7ELi8EEEEEEENS8_IJLi5ELi6ELi7ELi8EEEElEES1J_EEES1J_NS_31BlockToCTileMap_M00_N0_M01AdaptILi256ELi128ENSI_INS2_IJSO_SQ_SQ_EEENS2_IJSW_SX_SY_EEENS2_IJS12_S10_SZ_EEENS8_IJLi3ELi4EEEElEEiEELb0EEEvPKT0_PKT1_T2_PT3_T4_T5_T6_T7_T8_T9_T10_T11_
	.globl	_ZN2ck35kernel_gemm_multiple_d_xdl_cshuffleINS_34GridwiseGemmMultipleD_xdl_cshuffleIfffffNS_5TupleIJffEEEfNS_16tensor_operation12element_wise11PassThroughES6_NS5_14AddAddFastGeluELi1ELi256ELi256ELi128ELi32ELi8ELi8ELi16ELi16ELi8ELi4ENS_8SequenceIJLi4ELi64ELi1EEEENS8_IJLi1ELi0ELi2EEEESA_Li2ELi4ELi4ELb0ELi1ES9_SA_SA_Li2ELi4ELi4ELb0ELi1ELi1ELi1ENS8_IJLi1ELi32ELi1ELi8EEEELi2ELNS_13LoopSchedulerE0ELNS_15PipelineVersionE0EfLb0EEEffNS2_IJPKfSG_EEEfS6_S6_S7_NS_16TensorDescriptorINS2_IJNS_5EmbedINS2_IJiiEEENS2_IJiNS_17integral_constantIiLi1EEEEEELb0EEENS_11PassThroughIiEESQ_NS_7UnMergeINS2_IJiNSL_IiLi8EEEEEELb0EEESQ_EEENS2_IJNS8_IJLi0EEEENS8_IJLi1EEEENS8_IJLi2EEEENS8_IJLi4EEEENS8_IJLi3EEEEEEENS2_IJNS8_IJLi1ELi2EEEES10_SZ_NS8_IJLi5ELi6EEEENS8_IJLi7EEEEEEENS8_IJLi5ELi7ELi6EEEElEES17_NS2_IJNSI_INS2_IJSO_SQ_SQ_NSR_INS2_IJiNSL_IiLi256EEEEEELb0EEENSR_INS2_IJiNSL_IiLi128EEEEEELb0EEEEEENS2_IJSW_SX_SY_S10_SZ_EEENS2_IJS12_S10_SZ_S13_NS8_IJLi7ELi8EEEEEEENS8_IJLi5ELi6ELi7ELi8EEEElEES1J_EEES1J_NS_31BlockToCTileMap_M00_N0_M01AdaptILi256ELi128ENSI_INS2_IJSO_SQ_SQ_EEENS2_IJSW_SX_SY_EEENS2_IJS12_S10_SZ_EEENS8_IJLi3ELi4EEEElEEiEELb0EEEvPKT0_PKT1_T2_PT3_T4_T5_T6_T7_T8_T9_T10_T11_
	.p2align	8
	.type	_ZN2ck35kernel_gemm_multiple_d_xdl_cshuffleINS_34GridwiseGemmMultipleD_xdl_cshuffleIfffffNS_5TupleIJffEEEfNS_16tensor_operation12element_wise11PassThroughES6_NS5_14AddAddFastGeluELi1ELi256ELi256ELi128ELi32ELi8ELi8ELi16ELi16ELi8ELi4ENS_8SequenceIJLi4ELi64ELi1EEEENS8_IJLi1ELi0ELi2EEEESA_Li2ELi4ELi4ELb0ELi1ES9_SA_SA_Li2ELi4ELi4ELb0ELi1ELi1ELi1ENS8_IJLi1ELi32ELi1ELi8EEEELi2ELNS_13LoopSchedulerE0ELNS_15PipelineVersionE0EfLb0EEEffNS2_IJPKfSG_EEEfS6_S6_S7_NS_16TensorDescriptorINS2_IJNS_5EmbedINS2_IJiiEEENS2_IJiNS_17integral_constantIiLi1EEEEEELb0EEENS_11PassThroughIiEESQ_NS_7UnMergeINS2_IJiNSL_IiLi8EEEEEELb0EEESQ_EEENS2_IJNS8_IJLi0EEEENS8_IJLi1EEEENS8_IJLi2EEEENS8_IJLi4EEEENS8_IJLi3EEEEEEENS2_IJNS8_IJLi1ELi2EEEES10_SZ_NS8_IJLi5ELi6EEEENS8_IJLi7EEEEEEENS8_IJLi5ELi7ELi6EEEElEES17_NS2_IJNSI_INS2_IJSO_SQ_SQ_NSR_INS2_IJiNSL_IiLi256EEEEEELb0EEENSR_INS2_IJiNSL_IiLi128EEEEEELb0EEEEEENS2_IJSW_SX_SY_S10_SZ_EEENS2_IJS12_S10_SZ_S13_NS8_IJLi7ELi8EEEEEEENS8_IJLi5ELi6ELi7ELi8EEEElEES1J_EEES1J_NS_31BlockToCTileMap_M00_N0_M01AdaptILi256ELi128ENSI_INS2_IJSO_SQ_SQ_EEENS2_IJSW_SX_SY_EEENS2_IJS12_S10_SZ_EEENS8_IJLi3ELi4EEEElEEiEELb0EEEvPKT0_PKT1_T2_PT3_T4_T5_T6_T7_T8_T9_T10_T11_,@function
_ZN2ck35kernel_gemm_multiple_d_xdl_cshuffleINS_34GridwiseGemmMultipleD_xdl_cshuffleIfffffNS_5TupleIJffEEEfNS_16tensor_operation12element_wise11PassThroughES6_NS5_14AddAddFastGeluELi1ELi256ELi256ELi128ELi32ELi8ELi8ELi16ELi16ELi8ELi4ENS_8SequenceIJLi4ELi64ELi1EEEENS8_IJLi1ELi0ELi2EEEESA_Li2ELi4ELi4ELb0ELi1ES9_SA_SA_Li2ELi4ELi4ELb0ELi1ELi1ELi1ENS8_IJLi1ELi32ELi1ELi8EEEELi2ELNS_13LoopSchedulerE0ELNS_15PipelineVersionE0EfLb0EEEffNS2_IJPKfSG_EEEfS6_S6_S7_NS_16TensorDescriptorINS2_IJNS_5EmbedINS2_IJiiEEENS2_IJiNS_17integral_constantIiLi1EEEEEELb0EEENS_11PassThroughIiEESQ_NS_7UnMergeINS2_IJiNSL_IiLi8EEEEEELb0EEESQ_EEENS2_IJNS8_IJLi0EEEENS8_IJLi1EEEENS8_IJLi2EEEENS8_IJLi4EEEENS8_IJLi3EEEEEEENS2_IJNS8_IJLi1ELi2EEEES10_SZ_NS8_IJLi5ELi6EEEENS8_IJLi7EEEEEEENS8_IJLi5ELi7ELi6EEEElEES17_NS2_IJNSI_INS2_IJSO_SQ_SQ_NSR_INS2_IJiNSL_IiLi256EEEEEELb0EEENSR_INS2_IJiNSL_IiLi128EEEEEELb0EEEEEENS2_IJSW_SX_SY_S10_SZ_EEENS2_IJS12_S10_SZ_S13_NS8_IJLi7ELi8EEEEEEENS8_IJLi5ELi6ELi7ELi8EEEElEES1J_EEES1J_NS_31BlockToCTileMap_M00_N0_M01AdaptILi256ELi128ENSI_INS2_IJSO_SQ_SQ_EEENS2_IJSW_SX_SY_EEENS2_IJS12_S10_SZ_EEENS8_IJLi3ELi4EEEElEEiEELb0EEEvPKT0_PKT1_T2_PT3_T4_T5_T6_T7_T8_T9_T10_T11_: ; @_ZN2ck35kernel_gemm_multiple_d_xdl_cshuffleINS_34GridwiseGemmMultipleD_xdl_cshuffleIfffffNS_5TupleIJffEEEfNS_16tensor_operation12element_wise11PassThroughES6_NS5_14AddAddFastGeluELi1ELi256ELi256ELi128ELi32ELi8ELi8ELi16ELi16ELi8ELi4ENS_8SequenceIJLi4ELi64ELi1EEEENS8_IJLi1ELi0ELi2EEEESA_Li2ELi4ELi4ELb0ELi1ES9_SA_SA_Li2ELi4ELi4ELb0ELi1ELi1ELi1ENS8_IJLi1ELi32ELi1ELi8EEEELi2ELNS_13LoopSchedulerE0ELNS_15PipelineVersionE0EfLb0EEEffNS2_IJPKfSG_EEEfS6_S6_S7_NS_16TensorDescriptorINS2_IJNS_5EmbedINS2_IJiiEEENS2_IJiNS_17integral_constantIiLi1EEEEEELb0EEENS_11PassThroughIiEESQ_NS_7UnMergeINS2_IJiNSL_IiLi8EEEEEELb0EEESQ_EEENS2_IJNS8_IJLi0EEEENS8_IJLi1EEEENS8_IJLi2EEEENS8_IJLi4EEEENS8_IJLi3EEEEEEENS2_IJNS8_IJLi1ELi2EEEES10_SZ_NS8_IJLi5ELi6EEEENS8_IJLi7EEEEEEENS8_IJLi5ELi7ELi6EEEElEES17_NS2_IJNSI_INS2_IJSO_SQ_SQ_NSR_INS2_IJiNSL_IiLi256EEEEEELb0EEENSR_INS2_IJiNSL_IiLi128EEEEEELb0EEEEEENS2_IJSW_SX_SY_S10_SZ_EEENS2_IJS12_S10_SZ_S13_NS8_IJLi7ELi8EEEEEEENS8_IJLi5ELi6ELi7ELi8EEEElEES1J_EEES1J_NS_31BlockToCTileMap_M00_N0_M01AdaptILi256ELi128ENSI_INS2_IJSO_SQ_SQ_EEENS2_IJSW_SX_SY_EEENS2_IJS12_S10_SZ_EEENS8_IJLi3ELi4EEEElEEiEELb0EEEvPKT0_PKT1_T2_PT3_T4_T5_T6_T7_T8_T9_T10_T11_
; %bb.0:
	s_endpgm
	.section	.rodata,"a",@progbits
	.p2align	6, 0x0
	.amdhsa_kernel _ZN2ck35kernel_gemm_multiple_d_xdl_cshuffleINS_34GridwiseGemmMultipleD_xdl_cshuffleIfffffNS_5TupleIJffEEEfNS_16tensor_operation12element_wise11PassThroughES6_NS5_14AddAddFastGeluELi1ELi256ELi256ELi128ELi32ELi8ELi8ELi16ELi16ELi8ELi4ENS_8SequenceIJLi4ELi64ELi1EEEENS8_IJLi1ELi0ELi2EEEESA_Li2ELi4ELi4ELb0ELi1ES9_SA_SA_Li2ELi4ELi4ELb0ELi1ELi1ELi1ENS8_IJLi1ELi32ELi1ELi8EEEELi2ELNS_13LoopSchedulerE0ELNS_15PipelineVersionE0EfLb0EEEffNS2_IJPKfSG_EEEfS6_S6_S7_NS_16TensorDescriptorINS2_IJNS_5EmbedINS2_IJiiEEENS2_IJiNS_17integral_constantIiLi1EEEEEELb0EEENS_11PassThroughIiEESQ_NS_7UnMergeINS2_IJiNSL_IiLi8EEEEEELb0EEESQ_EEENS2_IJNS8_IJLi0EEEENS8_IJLi1EEEENS8_IJLi2EEEENS8_IJLi4EEEENS8_IJLi3EEEEEEENS2_IJNS8_IJLi1ELi2EEEES10_SZ_NS8_IJLi5ELi6EEEENS8_IJLi7EEEEEEENS8_IJLi5ELi7ELi6EEEElEES17_NS2_IJNSI_INS2_IJSO_SQ_SQ_NSR_INS2_IJiNSL_IiLi256EEEEEELb0EEENSR_INS2_IJiNSL_IiLi128EEEEEELb0EEEEEENS2_IJSW_SX_SY_S10_SZ_EEENS2_IJS12_S10_SZ_S13_NS8_IJLi7ELi8EEEEEEENS8_IJLi5ELi6ELi7ELi8EEEElEES1J_EEES1J_NS_31BlockToCTileMap_M00_N0_M01AdaptILi256ELi128ENSI_INS2_IJSO_SQ_SQ_EEENS2_IJSW_SX_SY_EEENS2_IJS12_S10_SZ_EEENS8_IJLi3ELi4EEEElEEiEELb0EEEvPKT0_PKT1_T2_PT3_T4_T5_T6_T7_T8_T9_T10_T11_
		.amdhsa_group_segment_fixed_size 0
		.amdhsa_private_segment_fixed_size 0
		.amdhsa_kernarg_size 364
		.amdhsa_user_sgpr_count 6
		.amdhsa_user_sgpr_private_segment_buffer 1
		.amdhsa_user_sgpr_dispatch_ptr 0
		.amdhsa_user_sgpr_queue_ptr 0
		.amdhsa_user_sgpr_kernarg_segment_ptr 1
		.amdhsa_user_sgpr_dispatch_id 0
		.amdhsa_user_sgpr_flat_scratch_init 0
		.amdhsa_user_sgpr_private_segment_size 0
		.amdhsa_uses_dynamic_stack 0
		.amdhsa_system_sgpr_private_segment_wavefront_offset 0
		.amdhsa_system_sgpr_workgroup_id_x 1
		.amdhsa_system_sgpr_workgroup_id_y 0
		.amdhsa_system_sgpr_workgroup_id_z 0
		.amdhsa_system_sgpr_workgroup_info 0
		.amdhsa_system_vgpr_workitem_id 0
		.amdhsa_next_free_vgpr 1
		.amdhsa_next_free_sgpr 0
		.amdhsa_reserve_vcc 0
		.amdhsa_reserve_flat_scratch 0
		.amdhsa_float_round_mode_32 0
		.amdhsa_float_round_mode_16_64 0
		.amdhsa_float_denorm_mode_32 3
		.amdhsa_float_denorm_mode_16_64 3
		.amdhsa_dx10_clamp 1
		.amdhsa_ieee_mode 1
		.amdhsa_fp16_overflow 0
		.amdhsa_exception_fp_ieee_invalid_op 0
		.amdhsa_exception_fp_denorm_src 0
		.amdhsa_exception_fp_ieee_div_zero 0
		.amdhsa_exception_fp_ieee_overflow 0
		.amdhsa_exception_fp_ieee_underflow 0
		.amdhsa_exception_fp_ieee_inexact 0
		.amdhsa_exception_int_div_zero 0
	.end_amdhsa_kernel
	.section	.text._ZN2ck35kernel_gemm_multiple_d_xdl_cshuffleINS_34GridwiseGemmMultipleD_xdl_cshuffleIfffffNS_5TupleIJffEEEfNS_16tensor_operation12element_wise11PassThroughES6_NS5_14AddAddFastGeluELi1ELi256ELi256ELi128ELi32ELi8ELi8ELi16ELi16ELi8ELi4ENS_8SequenceIJLi4ELi64ELi1EEEENS8_IJLi1ELi0ELi2EEEESA_Li2ELi4ELi4ELb0ELi1ES9_SA_SA_Li2ELi4ELi4ELb0ELi1ELi1ELi1ENS8_IJLi1ELi32ELi1ELi8EEEELi2ELNS_13LoopSchedulerE0ELNS_15PipelineVersionE0EfLb0EEEffNS2_IJPKfSG_EEEfS6_S6_S7_NS_16TensorDescriptorINS2_IJNS_5EmbedINS2_IJiiEEENS2_IJiNS_17integral_constantIiLi1EEEEEELb0EEENS_11PassThroughIiEESQ_NS_7UnMergeINS2_IJiNSL_IiLi8EEEEEELb0EEESQ_EEENS2_IJNS8_IJLi0EEEENS8_IJLi1EEEENS8_IJLi2EEEENS8_IJLi4EEEENS8_IJLi3EEEEEEENS2_IJNS8_IJLi1ELi2EEEES10_SZ_NS8_IJLi5ELi6EEEENS8_IJLi7EEEEEEENS8_IJLi5ELi7ELi6EEEElEES17_NS2_IJNSI_INS2_IJSO_SQ_SQ_NSR_INS2_IJiNSL_IiLi256EEEEEELb0EEENSR_INS2_IJiNSL_IiLi128EEEEEELb0EEEEEENS2_IJSW_SX_SY_S10_SZ_EEENS2_IJS12_S10_SZ_S13_NS8_IJLi7ELi8EEEEEEENS8_IJLi5ELi6ELi7ELi8EEEElEES1J_EEES1J_NS_31BlockToCTileMap_M00_N0_M01AdaptILi256ELi128ENSI_INS2_IJSO_SQ_SQ_EEENS2_IJSW_SX_SY_EEENS2_IJS12_S10_SZ_EEENS8_IJLi3ELi4EEEElEEiEELb0EEEvPKT0_PKT1_T2_PT3_T4_T5_T6_T7_T8_T9_T10_T11_,"axG",@progbits,_ZN2ck35kernel_gemm_multiple_d_xdl_cshuffleINS_34GridwiseGemmMultipleD_xdl_cshuffleIfffffNS_5TupleIJffEEEfNS_16tensor_operation12element_wise11PassThroughES6_NS5_14AddAddFastGeluELi1ELi256ELi256ELi128ELi32ELi8ELi8ELi16ELi16ELi8ELi4ENS_8SequenceIJLi4ELi64ELi1EEEENS8_IJLi1ELi0ELi2EEEESA_Li2ELi4ELi4ELb0ELi1ES9_SA_SA_Li2ELi4ELi4ELb0ELi1ELi1ELi1ENS8_IJLi1ELi32ELi1ELi8EEEELi2ELNS_13LoopSchedulerE0ELNS_15PipelineVersionE0EfLb0EEEffNS2_IJPKfSG_EEEfS6_S6_S7_NS_16TensorDescriptorINS2_IJNS_5EmbedINS2_IJiiEEENS2_IJiNS_17integral_constantIiLi1EEEEEELb0EEENS_11PassThroughIiEESQ_NS_7UnMergeINS2_IJiNSL_IiLi8EEEEEELb0EEESQ_EEENS2_IJNS8_IJLi0EEEENS8_IJLi1EEEENS8_IJLi2EEEENS8_IJLi4EEEENS8_IJLi3EEEEEEENS2_IJNS8_IJLi1ELi2EEEES10_SZ_NS8_IJLi5ELi6EEEENS8_IJLi7EEEEEEENS8_IJLi5ELi7ELi6EEEElEES17_NS2_IJNSI_INS2_IJSO_SQ_SQ_NSR_INS2_IJiNSL_IiLi256EEEEEELb0EEENSR_INS2_IJiNSL_IiLi128EEEEEELb0EEEEEENS2_IJSW_SX_SY_S10_SZ_EEENS2_IJS12_S10_SZ_S13_NS8_IJLi7ELi8EEEEEEENS8_IJLi5ELi6ELi7ELi8EEEElEES1J_EEES1J_NS_31BlockToCTileMap_M00_N0_M01AdaptILi256ELi128ENSI_INS2_IJSO_SQ_SQ_EEENS2_IJSW_SX_SY_EEENS2_IJS12_S10_SZ_EEENS8_IJLi3ELi4EEEElEEiEELb0EEEvPKT0_PKT1_T2_PT3_T4_T5_T6_T7_T8_T9_T10_T11_,comdat
.Lfunc_end2:
	.size	_ZN2ck35kernel_gemm_multiple_d_xdl_cshuffleINS_34GridwiseGemmMultipleD_xdl_cshuffleIfffffNS_5TupleIJffEEEfNS_16tensor_operation12element_wise11PassThroughES6_NS5_14AddAddFastGeluELi1ELi256ELi256ELi128ELi32ELi8ELi8ELi16ELi16ELi8ELi4ENS_8SequenceIJLi4ELi64ELi1EEEENS8_IJLi1ELi0ELi2EEEESA_Li2ELi4ELi4ELb0ELi1ES9_SA_SA_Li2ELi4ELi4ELb0ELi1ELi1ELi1ENS8_IJLi1ELi32ELi1ELi8EEEELi2ELNS_13LoopSchedulerE0ELNS_15PipelineVersionE0EfLb0EEEffNS2_IJPKfSG_EEEfS6_S6_S7_NS_16TensorDescriptorINS2_IJNS_5EmbedINS2_IJiiEEENS2_IJiNS_17integral_constantIiLi1EEEEEELb0EEENS_11PassThroughIiEESQ_NS_7UnMergeINS2_IJiNSL_IiLi8EEEEEELb0EEESQ_EEENS2_IJNS8_IJLi0EEEENS8_IJLi1EEEENS8_IJLi2EEEENS8_IJLi4EEEENS8_IJLi3EEEEEEENS2_IJNS8_IJLi1ELi2EEEES10_SZ_NS8_IJLi5ELi6EEEENS8_IJLi7EEEEEEENS8_IJLi5ELi7ELi6EEEElEES17_NS2_IJNSI_INS2_IJSO_SQ_SQ_NSR_INS2_IJiNSL_IiLi256EEEEEELb0EEENSR_INS2_IJiNSL_IiLi128EEEEEELb0EEEEEENS2_IJSW_SX_SY_S10_SZ_EEENS2_IJS12_S10_SZ_S13_NS8_IJLi7ELi8EEEEEEENS8_IJLi5ELi6ELi7ELi8EEEElEES1J_EEES1J_NS_31BlockToCTileMap_M00_N0_M01AdaptILi256ELi128ENSI_INS2_IJSO_SQ_SQ_EEENS2_IJSW_SX_SY_EEENS2_IJS12_S10_SZ_EEENS8_IJLi3ELi4EEEElEEiEELb0EEEvPKT0_PKT1_T2_PT3_T4_T5_T6_T7_T8_T9_T10_T11_, .Lfunc_end2-_ZN2ck35kernel_gemm_multiple_d_xdl_cshuffleINS_34GridwiseGemmMultipleD_xdl_cshuffleIfffffNS_5TupleIJffEEEfNS_16tensor_operation12element_wise11PassThroughES6_NS5_14AddAddFastGeluELi1ELi256ELi256ELi128ELi32ELi8ELi8ELi16ELi16ELi8ELi4ENS_8SequenceIJLi4ELi64ELi1EEEENS8_IJLi1ELi0ELi2EEEESA_Li2ELi4ELi4ELb0ELi1ES9_SA_SA_Li2ELi4ELi4ELb0ELi1ELi1ELi1ENS8_IJLi1ELi32ELi1ELi8EEEELi2ELNS_13LoopSchedulerE0ELNS_15PipelineVersionE0EfLb0EEEffNS2_IJPKfSG_EEEfS6_S6_S7_NS_16TensorDescriptorINS2_IJNS_5EmbedINS2_IJiiEEENS2_IJiNS_17integral_constantIiLi1EEEEEELb0EEENS_11PassThroughIiEESQ_NS_7UnMergeINS2_IJiNSL_IiLi8EEEEEELb0EEESQ_EEENS2_IJNS8_IJLi0EEEENS8_IJLi1EEEENS8_IJLi2EEEENS8_IJLi4EEEENS8_IJLi3EEEEEEENS2_IJNS8_IJLi1ELi2EEEES10_SZ_NS8_IJLi5ELi6EEEENS8_IJLi7EEEEEEENS8_IJLi5ELi7ELi6EEEElEES17_NS2_IJNSI_INS2_IJSO_SQ_SQ_NSR_INS2_IJiNSL_IiLi256EEEEEELb0EEENSR_INS2_IJiNSL_IiLi128EEEEEELb0EEEEEENS2_IJSW_SX_SY_S10_SZ_EEENS2_IJS12_S10_SZ_S13_NS8_IJLi7ELi8EEEEEEENS8_IJLi5ELi6ELi7ELi8EEEElEES1J_EEES1J_NS_31BlockToCTileMap_M00_N0_M01AdaptILi256ELi128ENSI_INS2_IJSO_SQ_SQ_EEENS2_IJSW_SX_SY_EEENS2_IJS12_S10_SZ_EEENS8_IJLi3ELi4EEEElEEiEELb0EEEvPKT0_PKT1_T2_PT3_T4_T5_T6_T7_T8_T9_T10_T11_
                                        ; -- End function
	.set _ZN2ck35kernel_gemm_multiple_d_xdl_cshuffleINS_34GridwiseGemmMultipleD_xdl_cshuffleIfffffNS_5TupleIJffEEEfNS_16tensor_operation12element_wise11PassThroughES6_NS5_14AddAddFastGeluELi1ELi256ELi256ELi128ELi32ELi8ELi8ELi16ELi16ELi8ELi4ENS_8SequenceIJLi4ELi64ELi1EEEENS8_IJLi1ELi0ELi2EEEESA_Li2ELi4ELi4ELb0ELi1ES9_SA_SA_Li2ELi4ELi4ELb0ELi1ELi1ELi1ENS8_IJLi1ELi32ELi1ELi8EEEELi2ELNS_13LoopSchedulerE0ELNS_15PipelineVersionE0EfLb0EEEffNS2_IJPKfSG_EEEfS6_S6_S7_NS_16TensorDescriptorINS2_IJNS_5EmbedINS2_IJiiEEENS2_IJiNS_17integral_constantIiLi1EEEEEELb0EEENS_11PassThroughIiEESQ_NS_7UnMergeINS2_IJiNSL_IiLi8EEEEEELb0EEESQ_EEENS2_IJNS8_IJLi0EEEENS8_IJLi1EEEENS8_IJLi2EEEENS8_IJLi4EEEENS8_IJLi3EEEEEEENS2_IJNS8_IJLi1ELi2EEEES10_SZ_NS8_IJLi5ELi6EEEENS8_IJLi7EEEEEEENS8_IJLi5ELi7ELi6EEEElEES17_NS2_IJNSI_INS2_IJSO_SQ_SQ_NSR_INS2_IJiNSL_IiLi256EEEEEELb0EEENSR_INS2_IJiNSL_IiLi128EEEEEELb0EEEEEENS2_IJSW_SX_SY_S10_SZ_EEENS2_IJS12_S10_SZ_S13_NS8_IJLi7ELi8EEEEEEENS8_IJLi5ELi6ELi7ELi8EEEElEES1J_EEES1J_NS_31BlockToCTileMap_M00_N0_M01AdaptILi256ELi128ENSI_INS2_IJSO_SQ_SQ_EEENS2_IJSW_SX_SY_EEENS2_IJS12_S10_SZ_EEENS8_IJLi3ELi4EEEElEEiEELb0EEEvPKT0_PKT1_T2_PT3_T4_T5_T6_T7_T8_T9_T10_T11_.num_vgpr, 0
	.set _ZN2ck35kernel_gemm_multiple_d_xdl_cshuffleINS_34GridwiseGemmMultipleD_xdl_cshuffleIfffffNS_5TupleIJffEEEfNS_16tensor_operation12element_wise11PassThroughES6_NS5_14AddAddFastGeluELi1ELi256ELi256ELi128ELi32ELi8ELi8ELi16ELi16ELi8ELi4ENS_8SequenceIJLi4ELi64ELi1EEEENS8_IJLi1ELi0ELi2EEEESA_Li2ELi4ELi4ELb0ELi1ES9_SA_SA_Li2ELi4ELi4ELb0ELi1ELi1ELi1ENS8_IJLi1ELi32ELi1ELi8EEEELi2ELNS_13LoopSchedulerE0ELNS_15PipelineVersionE0EfLb0EEEffNS2_IJPKfSG_EEEfS6_S6_S7_NS_16TensorDescriptorINS2_IJNS_5EmbedINS2_IJiiEEENS2_IJiNS_17integral_constantIiLi1EEEEEELb0EEENS_11PassThroughIiEESQ_NS_7UnMergeINS2_IJiNSL_IiLi8EEEEEELb0EEESQ_EEENS2_IJNS8_IJLi0EEEENS8_IJLi1EEEENS8_IJLi2EEEENS8_IJLi4EEEENS8_IJLi3EEEEEEENS2_IJNS8_IJLi1ELi2EEEES10_SZ_NS8_IJLi5ELi6EEEENS8_IJLi7EEEEEEENS8_IJLi5ELi7ELi6EEEElEES17_NS2_IJNSI_INS2_IJSO_SQ_SQ_NSR_INS2_IJiNSL_IiLi256EEEEEELb0EEENSR_INS2_IJiNSL_IiLi128EEEEEELb0EEEEEENS2_IJSW_SX_SY_S10_SZ_EEENS2_IJS12_S10_SZ_S13_NS8_IJLi7ELi8EEEEEEENS8_IJLi5ELi6ELi7ELi8EEEElEES1J_EEES1J_NS_31BlockToCTileMap_M00_N0_M01AdaptILi256ELi128ENSI_INS2_IJSO_SQ_SQ_EEENS2_IJSW_SX_SY_EEENS2_IJS12_S10_SZ_EEENS8_IJLi3ELi4EEEElEEiEELb0EEEvPKT0_PKT1_T2_PT3_T4_T5_T6_T7_T8_T9_T10_T11_.num_agpr, 0
	.set _ZN2ck35kernel_gemm_multiple_d_xdl_cshuffleINS_34GridwiseGemmMultipleD_xdl_cshuffleIfffffNS_5TupleIJffEEEfNS_16tensor_operation12element_wise11PassThroughES6_NS5_14AddAddFastGeluELi1ELi256ELi256ELi128ELi32ELi8ELi8ELi16ELi16ELi8ELi4ENS_8SequenceIJLi4ELi64ELi1EEEENS8_IJLi1ELi0ELi2EEEESA_Li2ELi4ELi4ELb0ELi1ES9_SA_SA_Li2ELi4ELi4ELb0ELi1ELi1ELi1ENS8_IJLi1ELi32ELi1ELi8EEEELi2ELNS_13LoopSchedulerE0ELNS_15PipelineVersionE0EfLb0EEEffNS2_IJPKfSG_EEEfS6_S6_S7_NS_16TensorDescriptorINS2_IJNS_5EmbedINS2_IJiiEEENS2_IJiNS_17integral_constantIiLi1EEEEEELb0EEENS_11PassThroughIiEESQ_NS_7UnMergeINS2_IJiNSL_IiLi8EEEEEELb0EEESQ_EEENS2_IJNS8_IJLi0EEEENS8_IJLi1EEEENS8_IJLi2EEEENS8_IJLi4EEEENS8_IJLi3EEEEEEENS2_IJNS8_IJLi1ELi2EEEES10_SZ_NS8_IJLi5ELi6EEEENS8_IJLi7EEEEEEENS8_IJLi5ELi7ELi6EEEElEES17_NS2_IJNSI_INS2_IJSO_SQ_SQ_NSR_INS2_IJiNSL_IiLi256EEEEEELb0EEENSR_INS2_IJiNSL_IiLi128EEEEEELb0EEEEEENS2_IJSW_SX_SY_S10_SZ_EEENS2_IJS12_S10_SZ_S13_NS8_IJLi7ELi8EEEEEEENS8_IJLi5ELi6ELi7ELi8EEEElEES1J_EEES1J_NS_31BlockToCTileMap_M00_N0_M01AdaptILi256ELi128ENSI_INS2_IJSO_SQ_SQ_EEENS2_IJSW_SX_SY_EEENS2_IJS12_S10_SZ_EEENS8_IJLi3ELi4EEEElEEiEELb0EEEvPKT0_PKT1_T2_PT3_T4_T5_T6_T7_T8_T9_T10_T11_.numbered_sgpr, 0
	.set _ZN2ck35kernel_gemm_multiple_d_xdl_cshuffleINS_34GridwiseGemmMultipleD_xdl_cshuffleIfffffNS_5TupleIJffEEEfNS_16tensor_operation12element_wise11PassThroughES6_NS5_14AddAddFastGeluELi1ELi256ELi256ELi128ELi32ELi8ELi8ELi16ELi16ELi8ELi4ENS_8SequenceIJLi4ELi64ELi1EEEENS8_IJLi1ELi0ELi2EEEESA_Li2ELi4ELi4ELb0ELi1ES9_SA_SA_Li2ELi4ELi4ELb0ELi1ELi1ELi1ENS8_IJLi1ELi32ELi1ELi8EEEELi2ELNS_13LoopSchedulerE0ELNS_15PipelineVersionE0EfLb0EEEffNS2_IJPKfSG_EEEfS6_S6_S7_NS_16TensorDescriptorINS2_IJNS_5EmbedINS2_IJiiEEENS2_IJiNS_17integral_constantIiLi1EEEEEELb0EEENS_11PassThroughIiEESQ_NS_7UnMergeINS2_IJiNSL_IiLi8EEEEEELb0EEESQ_EEENS2_IJNS8_IJLi0EEEENS8_IJLi1EEEENS8_IJLi2EEEENS8_IJLi4EEEENS8_IJLi3EEEEEEENS2_IJNS8_IJLi1ELi2EEEES10_SZ_NS8_IJLi5ELi6EEEENS8_IJLi7EEEEEEENS8_IJLi5ELi7ELi6EEEElEES17_NS2_IJNSI_INS2_IJSO_SQ_SQ_NSR_INS2_IJiNSL_IiLi256EEEEEELb0EEENSR_INS2_IJiNSL_IiLi128EEEEEELb0EEEEEENS2_IJSW_SX_SY_S10_SZ_EEENS2_IJS12_S10_SZ_S13_NS8_IJLi7ELi8EEEEEEENS8_IJLi5ELi6ELi7ELi8EEEElEES1J_EEES1J_NS_31BlockToCTileMap_M00_N0_M01AdaptILi256ELi128ENSI_INS2_IJSO_SQ_SQ_EEENS2_IJSW_SX_SY_EEENS2_IJS12_S10_SZ_EEENS8_IJLi3ELi4EEEElEEiEELb0EEEvPKT0_PKT1_T2_PT3_T4_T5_T6_T7_T8_T9_T10_T11_.num_named_barrier, 0
	.set _ZN2ck35kernel_gemm_multiple_d_xdl_cshuffleINS_34GridwiseGemmMultipleD_xdl_cshuffleIfffffNS_5TupleIJffEEEfNS_16tensor_operation12element_wise11PassThroughES6_NS5_14AddAddFastGeluELi1ELi256ELi256ELi128ELi32ELi8ELi8ELi16ELi16ELi8ELi4ENS_8SequenceIJLi4ELi64ELi1EEEENS8_IJLi1ELi0ELi2EEEESA_Li2ELi4ELi4ELb0ELi1ES9_SA_SA_Li2ELi4ELi4ELb0ELi1ELi1ELi1ENS8_IJLi1ELi32ELi1ELi8EEEELi2ELNS_13LoopSchedulerE0ELNS_15PipelineVersionE0EfLb0EEEffNS2_IJPKfSG_EEEfS6_S6_S7_NS_16TensorDescriptorINS2_IJNS_5EmbedINS2_IJiiEEENS2_IJiNS_17integral_constantIiLi1EEEEEELb0EEENS_11PassThroughIiEESQ_NS_7UnMergeINS2_IJiNSL_IiLi8EEEEEELb0EEESQ_EEENS2_IJNS8_IJLi0EEEENS8_IJLi1EEEENS8_IJLi2EEEENS8_IJLi4EEEENS8_IJLi3EEEEEEENS2_IJNS8_IJLi1ELi2EEEES10_SZ_NS8_IJLi5ELi6EEEENS8_IJLi7EEEEEEENS8_IJLi5ELi7ELi6EEEElEES17_NS2_IJNSI_INS2_IJSO_SQ_SQ_NSR_INS2_IJiNSL_IiLi256EEEEEELb0EEENSR_INS2_IJiNSL_IiLi128EEEEEELb0EEEEEENS2_IJSW_SX_SY_S10_SZ_EEENS2_IJS12_S10_SZ_S13_NS8_IJLi7ELi8EEEEEEENS8_IJLi5ELi6ELi7ELi8EEEElEES1J_EEES1J_NS_31BlockToCTileMap_M00_N0_M01AdaptILi256ELi128ENSI_INS2_IJSO_SQ_SQ_EEENS2_IJSW_SX_SY_EEENS2_IJS12_S10_SZ_EEENS8_IJLi3ELi4EEEElEEiEELb0EEEvPKT0_PKT1_T2_PT3_T4_T5_T6_T7_T8_T9_T10_T11_.private_seg_size, 0
	.set _ZN2ck35kernel_gemm_multiple_d_xdl_cshuffleINS_34GridwiseGemmMultipleD_xdl_cshuffleIfffffNS_5TupleIJffEEEfNS_16tensor_operation12element_wise11PassThroughES6_NS5_14AddAddFastGeluELi1ELi256ELi256ELi128ELi32ELi8ELi8ELi16ELi16ELi8ELi4ENS_8SequenceIJLi4ELi64ELi1EEEENS8_IJLi1ELi0ELi2EEEESA_Li2ELi4ELi4ELb0ELi1ES9_SA_SA_Li2ELi4ELi4ELb0ELi1ELi1ELi1ENS8_IJLi1ELi32ELi1ELi8EEEELi2ELNS_13LoopSchedulerE0ELNS_15PipelineVersionE0EfLb0EEEffNS2_IJPKfSG_EEEfS6_S6_S7_NS_16TensorDescriptorINS2_IJNS_5EmbedINS2_IJiiEEENS2_IJiNS_17integral_constantIiLi1EEEEEELb0EEENS_11PassThroughIiEESQ_NS_7UnMergeINS2_IJiNSL_IiLi8EEEEEELb0EEESQ_EEENS2_IJNS8_IJLi0EEEENS8_IJLi1EEEENS8_IJLi2EEEENS8_IJLi4EEEENS8_IJLi3EEEEEEENS2_IJNS8_IJLi1ELi2EEEES10_SZ_NS8_IJLi5ELi6EEEENS8_IJLi7EEEEEEENS8_IJLi5ELi7ELi6EEEElEES17_NS2_IJNSI_INS2_IJSO_SQ_SQ_NSR_INS2_IJiNSL_IiLi256EEEEEELb0EEENSR_INS2_IJiNSL_IiLi128EEEEEELb0EEEEEENS2_IJSW_SX_SY_S10_SZ_EEENS2_IJS12_S10_SZ_S13_NS8_IJLi7ELi8EEEEEEENS8_IJLi5ELi6ELi7ELi8EEEElEES1J_EEES1J_NS_31BlockToCTileMap_M00_N0_M01AdaptILi256ELi128ENSI_INS2_IJSO_SQ_SQ_EEENS2_IJSW_SX_SY_EEENS2_IJS12_S10_SZ_EEENS8_IJLi3ELi4EEEElEEiEELb0EEEvPKT0_PKT1_T2_PT3_T4_T5_T6_T7_T8_T9_T10_T11_.uses_vcc, 0
	.set _ZN2ck35kernel_gemm_multiple_d_xdl_cshuffleINS_34GridwiseGemmMultipleD_xdl_cshuffleIfffffNS_5TupleIJffEEEfNS_16tensor_operation12element_wise11PassThroughES6_NS5_14AddAddFastGeluELi1ELi256ELi256ELi128ELi32ELi8ELi8ELi16ELi16ELi8ELi4ENS_8SequenceIJLi4ELi64ELi1EEEENS8_IJLi1ELi0ELi2EEEESA_Li2ELi4ELi4ELb0ELi1ES9_SA_SA_Li2ELi4ELi4ELb0ELi1ELi1ELi1ENS8_IJLi1ELi32ELi1ELi8EEEELi2ELNS_13LoopSchedulerE0ELNS_15PipelineVersionE0EfLb0EEEffNS2_IJPKfSG_EEEfS6_S6_S7_NS_16TensorDescriptorINS2_IJNS_5EmbedINS2_IJiiEEENS2_IJiNS_17integral_constantIiLi1EEEEEELb0EEENS_11PassThroughIiEESQ_NS_7UnMergeINS2_IJiNSL_IiLi8EEEEEELb0EEESQ_EEENS2_IJNS8_IJLi0EEEENS8_IJLi1EEEENS8_IJLi2EEEENS8_IJLi4EEEENS8_IJLi3EEEEEEENS2_IJNS8_IJLi1ELi2EEEES10_SZ_NS8_IJLi5ELi6EEEENS8_IJLi7EEEEEEENS8_IJLi5ELi7ELi6EEEElEES17_NS2_IJNSI_INS2_IJSO_SQ_SQ_NSR_INS2_IJiNSL_IiLi256EEEEEELb0EEENSR_INS2_IJiNSL_IiLi128EEEEEELb0EEEEEENS2_IJSW_SX_SY_S10_SZ_EEENS2_IJS12_S10_SZ_S13_NS8_IJLi7ELi8EEEEEEENS8_IJLi5ELi6ELi7ELi8EEEElEES1J_EEES1J_NS_31BlockToCTileMap_M00_N0_M01AdaptILi256ELi128ENSI_INS2_IJSO_SQ_SQ_EEENS2_IJSW_SX_SY_EEENS2_IJS12_S10_SZ_EEENS8_IJLi3ELi4EEEElEEiEELb0EEEvPKT0_PKT1_T2_PT3_T4_T5_T6_T7_T8_T9_T10_T11_.uses_flat_scratch, 0
	.set _ZN2ck35kernel_gemm_multiple_d_xdl_cshuffleINS_34GridwiseGemmMultipleD_xdl_cshuffleIfffffNS_5TupleIJffEEEfNS_16tensor_operation12element_wise11PassThroughES6_NS5_14AddAddFastGeluELi1ELi256ELi256ELi128ELi32ELi8ELi8ELi16ELi16ELi8ELi4ENS_8SequenceIJLi4ELi64ELi1EEEENS8_IJLi1ELi0ELi2EEEESA_Li2ELi4ELi4ELb0ELi1ES9_SA_SA_Li2ELi4ELi4ELb0ELi1ELi1ELi1ENS8_IJLi1ELi32ELi1ELi8EEEELi2ELNS_13LoopSchedulerE0ELNS_15PipelineVersionE0EfLb0EEEffNS2_IJPKfSG_EEEfS6_S6_S7_NS_16TensorDescriptorINS2_IJNS_5EmbedINS2_IJiiEEENS2_IJiNS_17integral_constantIiLi1EEEEEELb0EEENS_11PassThroughIiEESQ_NS_7UnMergeINS2_IJiNSL_IiLi8EEEEEELb0EEESQ_EEENS2_IJNS8_IJLi0EEEENS8_IJLi1EEEENS8_IJLi2EEEENS8_IJLi4EEEENS8_IJLi3EEEEEEENS2_IJNS8_IJLi1ELi2EEEES10_SZ_NS8_IJLi5ELi6EEEENS8_IJLi7EEEEEEENS8_IJLi5ELi7ELi6EEEElEES17_NS2_IJNSI_INS2_IJSO_SQ_SQ_NSR_INS2_IJiNSL_IiLi256EEEEEELb0EEENSR_INS2_IJiNSL_IiLi128EEEEEELb0EEEEEENS2_IJSW_SX_SY_S10_SZ_EEENS2_IJS12_S10_SZ_S13_NS8_IJLi7ELi8EEEEEEENS8_IJLi5ELi6ELi7ELi8EEEElEES1J_EEES1J_NS_31BlockToCTileMap_M00_N0_M01AdaptILi256ELi128ENSI_INS2_IJSO_SQ_SQ_EEENS2_IJSW_SX_SY_EEENS2_IJS12_S10_SZ_EEENS8_IJLi3ELi4EEEElEEiEELb0EEEvPKT0_PKT1_T2_PT3_T4_T5_T6_T7_T8_T9_T10_T11_.has_dyn_sized_stack, 0
	.set _ZN2ck35kernel_gemm_multiple_d_xdl_cshuffleINS_34GridwiseGemmMultipleD_xdl_cshuffleIfffffNS_5TupleIJffEEEfNS_16tensor_operation12element_wise11PassThroughES6_NS5_14AddAddFastGeluELi1ELi256ELi256ELi128ELi32ELi8ELi8ELi16ELi16ELi8ELi4ENS_8SequenceIJLi4ELi64ELi1EEEENS8_IJLi1ELi0ELi2EEEESA_Li2ELi4ELi4ELb0ELi1ES9_SA_SA_Li2ELi4ELi4ELb0ELi1ELi1ELi1ENS8_IJLi1ELi32ELi1ELi8EEEELi2ELNS_13LoopSchedulerE0ELNS_15PipelineVersionE0EfLb0EEEffNS2_IJPKfSG_EEEfS6_S6_S7_NS_16TensorDescriptorINS2_IJNS_5EmbedINS2_IJiiEEENS2_IJiNS_17integral_constantIiLi1EEEEEELb0EEENS_11PassThroughIiEESQ_NS_7UnMergeINS2_IJiNSL_IiLi8EEEEEELb0EEESQ_EEENS2_IJNS8_IJLi0EEEENS8_IJLi1EEEENS8_IJLi2EEEENS8_IJLi4EEEENS8_IJLi3EEEEEEENS2_IJNS8_IJLi1ELi2EEEES10_SZ_NS8_IJLi5ELi6EEEENS8_IJLi7EEEEEEENS8_IJLi5ELi7ELi6EEEElEES17_NS2_IJNSI_INS2_IJSO_SQ_SQ_NSR_INS2_IJiNSL_IiLi256EEEEEELb0EEENSR_INS2_IJiNSL_IiLi128EEEEEELb0EEEEEENS2_IJSW_SX_SY_S10_SZ_EEENS2_IJS12_S10_SZ_S13_NS8_IJLi7ELi8EEEEEEENS8_IJLi5ELi6ELi7ELi8EEEElEES1J_EEES1J_NS_31BlockToCTileMap_M00_N0_M01AdaptILi256ELi128ENSI_INS2_IJSO_SQ_SQ_EEENS2_IJSW_SX_SY_EEENS2_IJS12_S10_SZ_EEENS8_IJLi3ELi4EEEElEEiEELb0EEEvPKT0_PKT1_T2_PT3_T4_T5_T6_T7_T8_T9_T10_T11_.has_recursion, 0
	.set _ZN2ck35kernel_gemm_multiple_d_xdl_cshuffleINS_34GridwiseGemmMultipleD_xdl_cshuffleIfffffNS_5TupleIJffEEEfNS_16tensor_operation12element_wise11PassThroughES6_NS5_14AddAddFastGeluELi1ELi256ELi256ELi128ELi32ELi8ELi8ELi16ELi16ELi8ELi4ENS_8SequenceIJLi4ELi64ELi1EEEENS8_IJLi1ELi0ELi2EEEESA_Li2ELi4ELi4ELb0ELi1ES9_SA_SA_Li2ELi4ELi4ELb0ELi1ELi1ELi1ENS8_IJLi1ELi32ELi1ELi8EEEELi2ELNS_13LoopSchedulerE0ELNS_15PipelineVersionE0EfLb0EEEffNS2_IJPKfSG_EEEfS6_S6_S7_NS_16TensorDescriptorINS2_IJNS_5EmbedINS2_IJiiEEENS2_IJiNS_17integral_constantIiLi1EEEEEELb0EEENS_11PassThroughIiEESQ_NS_7UnMergeINS2_IJiNSL_IiLi8EEEEEELb0EEESQ_EEENS2_IJNS8_IJLi0EEEENS8_IJLi1EEEENS8_IJLi2EEEENS8_IJLi4EEEENS8_IJLi3EEEEEEENS2_IJNS8_IJLi1ELi2EEEES10_SZ_NS8_IJLi5ELi6EEEENS8_IJLi7EEEEEEENS8_IJLi5ELi7ELi6EEEElEES17_NS2_IJNSI_INS2_IJSO_SQ_SQ_NSR_INS2_IJiNSL_IiLi256EEEEEELb0EEENSR_INS2_IJiNSL_IiLi128EEEEEELb0EEEEEENS2_IJSW_SX_SY_S10_SZ_EEENS2_IJS12_S10_SZ_S13_NS8_IJLi7ELi8EEEEEEENS8_IJLi5ELi6ELi7ELi8EEEElEES1J_EEES1J_NS_31BlockToCTileMap_M00_N0_M01AdaptILi256ELi128ENSI_INS2_IJSO_SQ_SQ_EEENS2_IJSW_SX_SY_EEENS2_IJS12_S10_SZ_EEENS8_IJLi3ELi4EEEElEEiEELb0EEEvPKT0_PKT1_T2_PT3_T4_T5_T6_T7_T8_T9_T10_T11_.has_indirect_call, 0
	.section	.AMDGPU.csdata,"",@progbits
; Kernel info:
; codeLenInByte = 4
; TotalNumSgprs: 4
; NumVgprs: 0
; ScratchSize: 0
; MemoryBound: 0
; FloatMode: 240
; IeeeMode: 1
; LDSByteSize: 0 bytes/workgroup (compile time only)
; SGPRBlocks: 0
; VGPRBlocks: 0
; NumSGPRsForWavesPerEU: 4
; NumVGPRsForWavesPerEU: 1
; Occupancy: 10
; WaveLimiterHint : 0
; COMPUTE_PGM_RSRC2:SCRATCH_EN: 0
; COMPUTE_PGM_RSRC2:USER_SGPR: 6
; COMPUTE_PGM_RSRC2:TRAP_HANDLER: 0
; COMPUTE_PGM_RSRC2:TGID_X_EN: 1
; COMPUTE_PGM_RSRC2:TGID_Y_EN: 0
; COMPUTE_PGM_RSRC2:TGID_Z_EN: 0
; COMPUTE_PGM_RSRC2:TIDIG_COMP_CNT: 0
	.section	.text._ZN2ck35kernel_gemm_multiple_d_xdl_cshuffleINS_34GridwiseGemmMultipleD_xdl_cshuffleIfffffNS_5TupleIJffEEEfNS_16tensor_operation12element_wise11PassThroughES6_NS5_14AddAddFastGeluELi1ELi256ELi256ELi128ELi32ELi8ELi8ELi16ELi16ELi8ELi2ENS_8SequenceIJLi4ELi64ELi1EEEENS8_IJLi1ELi0ELi2EEEESA_Li2ELi4ELi4ELb0ELi1ES9_SA_SA_Li2ELi4ELi4ELb0ELi1ELi1ELi1ENS8_IJLi1ELi32ELi1ELi8EEEELi2ELNS_13LoopSchedulerE0ELNS_15PipelineVersionE0EfLb0EEEffNS2_IJPKfSG_EEEfS6_S6_S7_NS_16TensorDescriptorINS2_IJNS_5EmbedINS2_IJiiEEENS2_IJiNS_17integral_constantIiLi1EEEEEELb0EEENS_11PassThroughIiEESQ_NS_7UnMergeINS2_IJiNSL_IiLi8EEEEEELb0EEESQ_EEENS2_IJNS8_IJLi0EEEENS8_IJLi1EEEENS8_IJLi2EEEENS8_IJLi4EEEENS8_IJLi3EEEEEEENS2_IJNS8_IJLi1ELi2EEEES10_SZ_NS8_IJLi5ELi6EEEENS8_IJLi7EEEEEEENS8_IJLi5ELi7ELi6EEEElEES17_NS2_IJNSI_INS2_IJSO_SQ_SQ_NSR_INS2_IJiNSL_IiLi256EEEEEELb0EEENSR_INS2_IJiNSL_IiLi128EEEEEELb0EEEEEENS2_IJSW_SX_SY_S10_SZ_EEENS2_IJS12_S10_SZ_S13_NS8_IJLi7ELi8EEEEEEENS8_IJLi5ELi6ELi7ELi8EEEElEES1J_EEES1J_NS_31BlockToCTileMap_M00_N0_M01AdaptILi256ELi128ENSI_INS2_IJSO_SQ_SQ_EEENS2_IJSW_SX_SY_EEENS2_IJS12_S10_SZ_EEENS8_IJLi3ELi4EEEElEEiEELb1EEEvPKT0_PKT1_T2_PT3_T4_T5_T6_T7_T8_T9_T10_T11_,"axG",@progbits,_ZN2ck35kernel_gemm_multiple_d_xdl_cshuffleINS_34GridwiseGemmMultipleD_xdl_cshuffleIfffffNS_5TupleIJffEEEfNS_16tensor_operation12element_wise11PassThroughES6_NS5_14AddAddFastGeluELi1ELi256ELi256ELi128ELi32ELi8ELi8ELi16ELi16ELi8ELi2ENS_8SequenceIJLi4ELi64ELi1EEEENS8_IJLi1ELi0ELi2EEEESA_Li2ELi4ELi4ELb0ELi1ES9_SA_SA_Li2ELi4ELi4ELb0ELi1ELi1ELi1ENS8_IJLi1ELi32ELi1ELi8EEEELi2ELNS_13LoopSchedulerE0ELNS_15PipelineVersionE0EfLb0EEEffNS2_IJPKfSG_EEEfS6_S6_S7_NS_16TensorDescriptorINS2_IJNS_5EmbedINS2_IJiiEEENS2_IJiNS_17integral_constantIiLi1EEEEEELb0EEENS_11PassThroughIiEESQ_NS_7UnMergeINS2_IJiNSL_IiLi8EEEEEELb0EEESQ_EEENS2_IJNS8_IJLi0EEEENS8_IJLi1EEEENS8_IJLi2EEEENS8_IJLi4EEEENS8_IJLi3EEEEEEENS2_IJNS8_IJLi1ELi2EEEES10_SZ_NS8_IJLi5ELi6EEEENS8_IJLi7EEEEEEENS8_IJLi5ELi7ELi6EEEElEES17_NS2_IJNSI_INS2_IJSO_SQ_SQ_NSR_INS2_IJiNSL_IiLi256EEEEEELb0EEENSR_INS2_IJiNSL_IiLi128EEEEEELb0EEEEEENS2_IJSW_SX_SY_S10_SZ_EEENS2_IJS12_S10_SZ_S13_NS8_IJLi7ELi8EEEEEEENS8_IJLi5ELi6ELi7ELi8EEEElEES1J_EEES1J_NS_31BlockToCTileMap_M00_N0_M01AdaptILi256ELi128ENSI_INS2_IJSO_SQ_SQ_EEENS2_IJSW_SX_SY_EEENS2_IJS12_S10_SZ_EEENS8_IJLi3ELi4EEEElEEiEELb1EEEvPKT0_PKT1_T2_PT3_T4_T5_T6_T7_T8_T9_T10_T11_,comdat
	.protected	_ZN2ck35kernel_gemm_multiple_d_xdl_cshuffleINS_34GridwiseGemmMultipleD_xdl_cshuffleIfffffNS_5TupleIJffEEEfNS_16tensor_operation12element_wise11PassThroughES6_NS5_14AddAddFastGeluELi1ELi256ELi256ELi128ELi32ELi8ELi8ELi16ELi16ELi8ELi2ENS_8SequenceIJLi4ELi64ELi1EEEENS8_IJLi1ELi0ELi2EEEESA_Li2ELi4ELi4ELb0ELi1ES9_SA_SA_Li2ELi4ELi4ELb0ELi1ELi1ELi1ENS8_IJLi1ELi32ELi1ELi8EEEELi2ELNS_13LoopSchedulerE0ELNS_15PipelineVersionE0EfLb0EEEffNS2_IJPKfSG_EEEfS6_S6_S7_NS_16TensorDescriptorINS2_IJNS_5EmbedINS2_IJiiEEENS2_IJiNS_17integral_constantIiLi1EEEEEELb0EEENS_11PassThroughIiEESQ_NS_7UnMergeINS2_IJiNSL_IiLi8EEEEEELb0EEESQ_EEENS2_IJNS8_IJLi0EEEENS8_IJLi1EEEENS8_IJLi2EEEENS8_IJLi4EEEENS8_IJLi3EEEEEEENS2_IJNS8_IJLi1ELi2EEEES10_SZ_NS8_IJLi5ELi6EEEENS8_IJLi7EEEEEEENS8_IJLi5ELi7ELi6EEEElEES17_NS2_IJNSI_INS2_IJSO_SQ_SQ_NSR_INS2_IJiNSL_IiLi256EEEEEELb0EEENSR_INS2_IJiNSL_IiLi128EEEEEELb0EEEEEENS2_IJSW_SX_SY_S10_SZ_EEENS2_IJS12_S10_SZ_S13_NS8_IJLi7ELi8EEEEEEENS8_IJLi5ELi6ELi7ELi8EEEElEES1J_EEES1J_NS_31BlockToCTileMap_M00_N0_M01AdaptILi256ELi128ENSI_INS2_IJSO_SQ_SQ_EEENS2_IJSW_SX_SY_EEENS2_IJS12_S10_SZ_EEENS8_IJLi3ELi4EEEElEEiEELb1EEEvPKT0_PKT1_T2_PT3_T4_T5_T6_T7_T8_T9_T10_T11_ ; -- Begin function _ZN2ck35kernel_gemm_multiple_d_xdl_cshuffleINS_34GridwiseGemmMultipleD_xdl_cshuffleIfffffNS_5TupleIJffEEEfNS_16tensor_operation12element_wise11PassThroughES6_NS5_14AddAddFastGeluELi1ELi256ELi256ELi128ELi32ELi8ELi8ELi16ELi16ELi8ELi2ENS_8SequenceIJLi4ELi64ELi1EEEENS8_IJLi1ELi0ELi2EEEESA_Li2ELi4ELi4ELb0ELi1ES9_SA_SA_Li2ELi4ELi4ELb0ELi1ELi1ELi1ENS8_IJLi1ELi32ELi1ELi8EEEELi2ELNS_13LoopSchedulerE0ELNS_15PipelineVersionE0EfLb0EEEffNS2_IJPKfSG_EEEfS6_S6_S7_NS_16TensorDescriptorINS2_IJNS_5EmbedINS2_IJiiEEENS2_IJiNS_17integral_constantIiLi1EEEEEELb0EEENS_11PassThroughIiEESQ_NS_7UnMergeINS2_IJiNSL_IiLi8EEEEEELb0EEESQ_EEENS2_IJNS8_IJLi0EEEENS8_IJLi1EEEENS8_IJLi2EEEENS8_IJLi4EEEENS8_IJLi3EEEEEEENS2_IJNS8_IJLi1ELi2EEEES10_SZ_NS8_IJLi5ELi6EEEENS8_IJLi7EEEEEEENS8_IJLi5ELi7ELi6EEEElEES17_NS2_IJNSI_INS2_IJSO_SQ_SQ_NSR_INS2_IJiNSL_IiLi256EEEEEELb0EEENSR_INS2_IJiNSL_IiLi128EEEEEELb0EEEEEENS2_IJSW_SX_SY_S10_SZ_EEENS2_IJS12_S10_SZ_S13_NS8_IJLi7ELi8EEEEEEENS8_IJLi5ELi6ELi7ELi8EEEElEES1J_EEES1J_NS_31BlockToCTileMap_M00_N0_M01AdaptILi256ELi128ENSI_INS2_IJSO_SQ_SQ_EEENS2_IJSW_SX_SY_EEENS2_IJS12_S10_SZ_EEENS8_IJLi3ELi4EEEElEEiEELb1EEEvPKT0_PKT1_T2_PT3_T4_T5_T6_T7_T8_T9_T10_T11_
	.globl	_ZN2ck35kernel_gemm_multiple_d_xdl_cshuffleINS_34GridwiseGemmMultipleD_xdl_cshuffleIfffffNS_5TupleIJffEEEfNS_16tensor_operation12element_wise11PassThroughES6_NS5_14AddAddFastGeluELi1ELi256ELi256ELi128ELi32ELi8ELi8ELi16ELi16ELi8ELi2ENS_8SequenceIJLi4ELi64ELi1EEEENS8_IJLi1ELi0ELi2EEEESA_Li2ELi4ELi4ELb0ELi1ES9_SA_SA_Li2ELi4ELi4ELb0ELi1ELi1ELi1ENS8_IJLi1ELi32ELi1ELi8EEEELi2ELNS_13LoopSchedulerE0ELNS_15PipelineVersionE0EfLb0EEEffNS2_IJPKfSG_EEEfS6_S6_S7_NS_16TensorDescriptorINS2_IJNS_5EmbedINS2_IJiiEEENS2_IJiNS_17integral_constantIiLi1EEEEEELb0EEENS_11PassThroughIiEESQ_NS_7UnMergeINS2_IJiNSL_IiLi8EEEEEELb0EEESQ_EEENS2_IJNS8_IJLi0EEEENS8_IJLi1EEEENS8_IJLi2EEEENS8_IJLi4EEEENS8_IJLi3EEEEEEENS2_IJNS8_IJLi1ELi2EEEES10_SZ_NS8_IJLi5ELi6EEEENS8_IJLi7EEEEEEENS8_IJLi5ELi7ELi6EEEElEES17_NS2_IJNSI_INS2_IJSO_SQ_SQ_NSR_INS2_IJiNSL_IiLi256EEEEEELb0EEENSR_INS2_IJiNSL_IiLi128EEEEEELb0EEEEEENS2_IJSW_SX_SY_S10_SZ_EEENS2_IJS12_S10_SZ_S13_NS8_IJLi7ELi8EEEEEEENS8_IJLi5ELi6ELi7ELi8EEEElEES1J_EEES1J_NS_31BlockToCTileMap_M00_N0_M01AdaptILi256ELi128ENSI_INS2_IJSO_SQ_SQ_EEENS2_IJSW_SX_SY_EEENS2_IJS12_S10_SZ_EEENS8_IJLi3ELi4EEEElEEiEELb1EEEvPKT0_PKT1_T2_PT3_T4_T5_T6_T7_T8_T9_T10_T11_
	.p2align	8
	.type	_ZN2ck35kernel_gemm_multiple_d_xdl_cshuffleINS_34GridwiseGemmMultipleD_xdl_cshuffleIfffffNS_5TupleIJffEEEfNS_16tensor_operation12element_wise11PassThroughES6_NS5_14AddAddFastGeluELi1ELi256ELi256ELi128ELi32ELi8ELi8ELi16ELi16ELi8ELi2ENS_8SequenceIJLi4ELi64ELi1EEEENS8_IJLi1ELi0ELi2EEEESA_Li2ELi4ELi4ELb0ELi1ES9_SA_SA_Li2ELi4ELi4ELb0ELi1ELi1ELi1ENS8_IJLi1ELi32ELi1ELi8EEEELi2ELNS_13LoopSchedulerE0ELNS_15PipelineVersionE0EfLb0EEEffNS2_IJPKfSG_EEEfS6_S6_S7_NS_16TensorDescriptorINS2_IJNS_5EmbedINS2_IJiiEEENS2_IJiNS_17integral_constantIiLi1EEEEEELb0EEENS_11PassThroughIiEESQ_NS_7UnMergeINS2_IJiNSL_IiLi8EEEEEELb0EEESQ_EEENS2_IJNS8_IJLi0EEEENS8_IJLi1EEEENS8_IJLi2EEEENS8_IJLi4EEEENS8_IJLi3EEEEEEENS2_IJNS8_IJLi1ELi2EEEES10_SZ_NS8_IJLi5ELi6EEEENS8_IJLi7EEEEEEENS8_IJLi5ELi7ELi6EEEElEES17_NS2_IJNSI_INS2_IJSO_SQ_SQ_NSR_INS2_IJiNSL_IiLi256EEEEEELb0EEENSR_INS2_IJiNSL_IiLi128EEEEEELb0EEEEEENS2_IJSW_SX_SY_S10_SZ_EEENS2_IJS12_S10_SZ_S13_NS8_IJLi7ELi8EEEEEEENS8_IJLi5ELi6ELi7ELi8EEEElEES1J_EEES1J_NS_31BlockToCTileMap_M00_N0_M01AdaptILi256ELi128ENSI_INS2_IJSO_SQ_SQ_EEENS2_IJSW_SX_SY_EEENS2_IJS12_S10_SZ_EEENS8_IJLi3ELi4EEEElEEiEELb1EEEvPKT0_PKT1_T2_PT3_T4_T5_T6_T7_T8_T9_T10_T11_,@function
_ZN2ck35kernel_gemm_multiple_d_xdl_cshuffleINS_34GridwiseGemmMultipleD_xdl_cshuffleIfffffNS_5TupleIJffEEEfNS_16tensor_operation12element_wise11PassThroughES6_NS5_14AddAddFastGeluELi1ELi256ELi256ELi128ELi32ELi8ELi8ELi16ELi16ELi8ELi2ENS_8SequenceIJLi4ELi64ELi1EEEENS8_IJLi1ELi0ELi2EEEESA_Li2ELi4ELi4ELb0ELi1ES9_SA_SA_Li2ELi4ELi4ELb0ELi1ELi1ELi1ENS8_IJLi1ELi32ELi1ELi8EEEELi2ELNS_13LoopSchedulerE0ELNS_15PipelineVersionE0EfLb0EEEffNS2_IJPKfSG_EEEfS6_S6_S7_NS_16TensorDescriptorINS2_IJNS_5EmbedINS2_IJiiEEENS2_IJiNS_17integral_constantIiLi1EEEEEELb0EEENS_11PassThroughIiEESQ_NS_7UnMergeINS2_IJiNSL_IiLi8EEEEEELb0EEESQ_EEENS2_IJNS8_IJLi0EEEENS8_IJLi1EEEENS8_IJLi2EEEENS8_IJLi4EEEENS8_IJLi3EEEEEEENS2_IJNS8_IJLi1ELi2EEEES10_SZ_NS8_IJLi5ELi6EEEENS8_IJLi7EEEEEEENS8_IJLi5ELi7ELi6EEEElEES17_NS2_IJNSI_INS2_IJSO_SQ_SQ_NSR_INS2_IJiNSL_IiLi256EEEEEELb0EEENSR_INS2_IJiNSL_IiLi128EEEEEELb0EEEEEENS2_IJSW_SX_SY_S10_SZ_EEENS2_IJS12_S10_SZ_S13_NS8_IJLi7ELi8EEEEEEENS8_IJLi5ELi6ELi7ELi8EEEElEES1J_EEES1J_NS_31BlockToCTileMap_M00_N0_M01AdaptILi256ELi128ENSI_INS2_IJSO_SQ_SQ_EEENS2_IJSW_SX_SY_EEENS2_IJS12_S10_SZ_EEENS8_IJLi3ELi4EEEElEEiEELb1EEEvPKT0_PKT1_T2_PT3_T4_T5_T6_T7_T8_T9_T10_T11_: ; @_ZN2ck35kernel_gemm_multiple_d_xdl_cshuffleINS_34GridwiseGemmMultipleD_xdl_cshuffleIfffffNS_5TupleIJffEEEfNS_16tensor_operation12element_wise11PassThroughES6_NS5_14AddAddFastGeluELi1ELi256ELi256ELi128ELi32ELi8ELi8ELi16ELi16ELi8ELi2ENS_8SequenceIJLi4ELi64ELi1EEEENS8_IJLi1ELi0ELi2EEEESA_Li2ELi4ELi4ELb0ELi1ES9_SA_SA_Li2ELi4ELi4ELb0ELi1ELi1ELi1ENS8_IJLi1ELi32ELi1ELi8EEEELi2ELNS_13LoopSchedulerE0ELNS_15PipelineVersionE0EfLb0EEEffNS2_IJPKfSG_EEEfS6_S6_S7_NS_16TensorDescriptorINS2_IJNS_5EmbedINS2_IJiiEEENS2_IJiNS_17integral_constantIiLi1EEEEEELb0EEENS_11PassThroughIiEESQ_NS_7UnMergeINS2_IJiNSL_IiLi8EEEEEELb0EEESQ_EEENS2_IJNS8_IJLi0EEEENS8_IJLi1EEEENS8_IJLi2EEEENS8_IJLi4EEEENS8_IJLi3EEEEEEENS2_IJNS8_IJLi1ELi2EEEES10_SZ_NS8_IJLi5ELi6EEEENS8_IJLi7EEEEEEENS8_IJLi5ELi7ELi6EEEElEES17_NS2_IJNSI_INS2_IJSO_SQ_SQ_NSR_INS2_IJiNSL_IiLi256EEEEEELb0EEENSR_INS2_IJiNSL_IiLi128EEEEEELb0EEEEEENS2_IJSW_SX_SY_S10_SZ_EEENS2_IJS12_S10_SZ_S13_NS8_IJLi7ELi8EEEEEEENS8_IJLi5ELi6ELi7ELi8EEEElEES1J_EEES1J_NS_31BlockToCTileMap_M00_N0_M01AdaptILi256ELi128ENSI_INS2_IJSO_SQ_SQ_EEENS2_IJSW_SX_SY_EEENS2_IJS12_S10_SZ_EEENS8_IJLi3ELi4EEEElEEiEELb1EEEvPKT0_PKT1_T2_PT3_T4_T5_T6_T7_T8_T9_T10_T11_
; %bb.0:
	s_endpgm
	.section	.rodata,"a",@progbits
	.p2align	6, 0x0
	.amdhsa_kernel _ZN2ck35kernel_gemm_multiple_d_xdl_cshuffleINS_34GridwiseGemmMultipleD_xdl_cshuffleIfffffNS_5TupleIJffEEEfNS_16tensor_operation12element_wise11PassThroughES6_NS5_14AddAddFastGeluELi1ELi256ELi256ELi128ELi32ELi8ELi8ELi16ELi16ELi8ELi2ENS_8SequenceIJLi4ELi64ELi1EEEENS8_IJLi1ELi0ELi2EEEESA_Li2ELi4ELi4ELb0ELi1ES9_SA_SA_Li2ELi4ELi4ELb0ELi1ELi1ELi1ENS8_IJLi1ELi32ELi1ELi8EEEELi2ELNS_13LoopSchedulerE0ELNS_15PipelineVersionE0EfLb0EEEffNS2_IJPKfSG_EEEfS6_S6_S7_NS_16TensorDescriptorINS2_IJNS_5EmbedINS2_IJiiEEENS2_IJiNS_17integral_constantIiLi1EEEEEELb0EEENS_11PassThroughIiEESQ_NS_7UnMergeINS2_IJiNSL_IiLi8EEEEEELb0EEESQ_EEENS2_IJNS8_IJLi0EEEENS8_IJLi1EEEENS8_IJLi2EEEENS8_IJLi4EEEENS8_IJLi3EEEEEEENS2_IJNS8_IJLi1ELi2EEEES10_SZ_NS8_IJLi5ELi6EEEENS8_IJLi7EEEEEEENS8_IJLi5ELi7ELi6EEEElEES17_NS2_IJNSI_INS2_IJSO_SQ_SQ_NSR_INS2_IJiNSL_IiLi256EEEEEELb0EEENSR_INS2_IJiNSL_IiLi128EEEEEELb0EEEEEENS2_IJSW_SX_SY_S10_SZ_EEENS2_IJS12_S10_SZ_S13_NS8_IJLi7ELi8EEEEEEENS8_IJLi5ELi6ELi7ELi8EEEElEES1J_EEES1J_NS_31BlockToCTileMap_M00_N0_M01AdaptILi256ELi128ENSI_INS2_IJSO_SQ_SQ_EEENS2_IJSW_SX_SY_EEENS2_IJS12_S10_SZ_EEENS8_IJLi3ELi4EEEElEEiEELb1EEEvPKT0_PKT1_T2_PT3_T4_T5_T6_T7_T8_T9_T10_T11_
		.amdhsa_group_segment_fixed_size 0
		.amdhsa_private_segment_fixed_size 0
		.amdhsa_kernarg_size 364
		.amdhsa_user_sgpr_count 6
		.amdhsa_user_sgpr_private_segment_buffer 1
		.amdhsa_user_sgpr_dispatch_ptr 0
		.amdhsa_user_sgpr_queue_ptr 0
		.amdhsa_user_sgpr_kernarg_segment_ptr 1
		.amdhsa_user_sgpr_dispatch_id 0
		.amdhsa_user_sgpr_flat_scratch_init 0
		.amdhsa_user_sgpr_private_segment_size 0
		.amdhsa_uses_dynamic_stack 0
		.amdhsa_system_sgpr_private_segment_wavefront_offset 0
		.amdhsa_system_sgpr_workgroup_id_x 1
		.amdhsa_system_sgpr_workgroup_id_y 0
		.amdhsa_system_sgpr_workgroup_id_z 0
		.amdhsa_system_sgpr_workgroup_info 0
		.amdhsa_system_vgpr_workitem_id 0
		.amdhsa_next_free_vgpr 1
		.amdhsa_next_free_sgpr 0
		.amdhsa_reserve_vcc 0
		.amdhsa_reserve_flat_scratch 0
		.amdhsa_float_round_mode_32 0
		.amdhsa_float_round_mode_16_64 0
		.amdhsa_float_denorm_mode_32 3
		.amdhsa_float_denorm_mode_16_64 3
		.amdhsa_dx10_clamp 1
		.amdhsa_ieee_mode 1
		.amdhsa_fp16_overflow 0
		.amdhsa_exception_fp_ieee_invalid_op 0
		.amdhsa_exception_fp_denorm_src 0
		.amdhsa_exception_fp_ieee_div_zero 0
		.amdhsa_exception_fp_ieee_overflow 0
		.amdhsa_exception_fp_ieee_underflow 0
		.amdhsa_exception_fp_ieee_inexact 0
		.amdhsa_exception_int_div_zero 0
	.end_amdhsa_kernel
	.section	.text._ZN2ck35kernel_gemm_multiple_d_xdl_cshuffleINS_34GridwiseGemmMultipleD_xdl_cshuffleIfffffNS_5TupleIJffEEEfNS_16tensor_operation12element_wise11PassThroughES6_NS5_14AddAddFastGeluELi1ELi256ELi256ELi128ELi32ELi8ELi8ELi16ELi16ELi8ELi2ENS_8SequenceIJLi4ELi64ELi1EEEENS8_IJLi1ELi0ELi2EEEESA_Li2ELi4ELi4ELb0ELi1ES9_SA_SA_Li2ELi4ELi4ELb0ELi1ELi1ELi1ENS8_IJLi1ELi32ELi1ELi8EEEELi2ELNS_13LoopSchedulerE0ELNS_15PipelineVersionE0EfLb0EEEffNS2_IJPKfSG_EEEfS6_S6_S7_NS_16TensorDescriptorINS2_IJNS_5EmbedINS2_IJiiEEENS2_IJiNS_17integral_constantIiLi1EEEEEELb0EEENS_11PassThroughIiEESQ_NS_7UnMergeINS2_IJiNSL_IiLi8EEEEEELb0EEESQ_EEENS2_IJNS8_IJLi0EEEENS8_IJLi1EEEENS8_IJLi2EEEENS8_IJLi4EEEENS8_IJLi3EEEEEEENS2_IJNS8_IJLi1ELi2EEEES10_SZ_NS8_IJLi5ELi6EEEENS8_IJLi7EEEEEEENS8_IJLi5ELi7ELi6EEEElEES17_NS2_IJNSI_INS2_IJSO_SQ_SQ_NSR_INS2_IJiNSL_IiLi256EEEEEELb0EEENSR_INS2_IJiNSL_IiLi128EEEEEELb0EEEEEENS2_IJSW_SX_SY_S10_SZ_EEENS2_IJS12_S10_SZ_S13_NS8_IJLi7ELi8EEEEEEENS8_IJLi5ELi6ELi7ELi8EEEElEES1J_EEES1J_NS_31BlockToCTileMap_M00_N0_M01AdaptILi256ELi128ENSI_INS2_IJSO_SQ_SQ_EEENS2_IJSW_SX_SY_EEENS2_IJS12_S10_SZ_EEENS8_IJLi3ELi4EEEElEEiEELb1EEEvPKT0_PKT1_T2_PT3_T4_T5_T6_T7_T8_T9_T10_T11_,"axG",@progbits,_ZN2ck35kernel_gemm_multiple_d_xdl_cshuffleINS_34GridwiseGemmMultipleD_xdl_cshuffleIfffffNS_5TupleIJffEEEfNS_16tensor_operation12element_wise11PassThroughES6_NS5_14AddAddFastGeluELi1ELi256ELi256ELi128ELi32ELi8ELi8ELi16ELi16ELi8ELi2ENS_8SequenceIJLi4ELi64ELi1EEEENS8_IJLi1ELi0ELi2EEEESA_Li2ELi4ELi4ELb0ELi1ES9_SA_SA_Li2ELi4ELi4ELb0ELi1ELi1ELi1ENS8_IJLi1ELi32ELi1ELi8EEEELi2ELNS_13LoopSchedulerE0ELNS_15PipelineVersionE0EfLb0EEEffNS2_IJPKfSG_EEEfS6_S6_S7_NS_16TensorDescriptorINS2_IJNS_5EmbedINS2_IJiiEEENS2_IJiNS_17integral_constantIiLi1EEEEEELb0EEENS_11PassThroughIiEESQ_NS_7UnMergeINS2_IJiNSL_IiLi8EEEEEELb0EEESQ_EEENS2_IJNS8_IJLi0EEEENS8_IJLi1EEEENS8_IJLi2EEEENS8_IJLi4EEEENS8_IJLi3EEEEEEENS2_IJNS8_IJLi1ELi2EEEES10_SZ_NS8_IJLi5ELi6EEEENS8_IJLi7EEEEEEENS8_IJLi5ELi7ELi6EEEElEES17_NS2_IJNSI_INS2_IJSO_SQ_SQ_NSR_INS2_IJiNSL_IiLi256EEEEEELb0EEENSR_INS2_IJiNSL_IiLi128EEEEEELb0EEEEEENS2_IJSW_SX_SY_S10_SZ_EEENS2_IJS12_S10_SZ_S13_NS8_IJLi7ELi8EEEEEEENS8_IJLi5ELi6ELi7ELi8EEEElEES1J_EEES1J_NS_31BlockToCTileMap_M00_N0_M01AdaptILi256ELi128ENSI_INS2_IJSO_SQ_SQ_EEENS2_IJSW_SX_SY_EEENS2_IJS12_S10_SZ_EEENS8_IJLi3ELi4EEEElEEiEELb1EEEvPKT0_PKT1_T2_PT3_T4_T5_T6_T7_T8_T9_T10_T11_,comdat
.Lfunc_end3:
	.size	_ZN2ck35kernel_gemm_multiple_d_xdl_cshuffleINS_34GridwiseGemmMultipleD_xdl_cshuffleIfffffNS_5TupleIJffEEEfNS_16tensor_operation12element_wise11PassThroughES6_NS5_14AddAddFastGeluELi1ELi256ELi256ELi128ELi32ELi8ELi8ELi16ELi16ELi8ELi2ENS_8SequenceIJLi4ELi64ELi1EEEENS8_IJLi1ELi0ELi2EEEESA_Li2ELi4ELi4ELb0ELi1ES9_SA_SA_Li2ELi4ELi4ELb0ELi1ELi1ELi1ENS8_IJLi1ELi32ELi1ELi8EEEELi2ELNS_13LoopSchedulerE0ELNS_15PipelineVersionE0EfLb0EEEffNS2_IJPKfSG_EEEfS6_S6_S7_NS_16TensorDescriptorINS2_IJNS_5EmbedINS2_IJiiEEENS2_IJiNS_17integral_constantIiLi1EEEEEELb0EEENS_11PassThroughIiEESQ_NS_7UnMergeINS2_IJiNSL_IiLi8EEEEEELb0EEESQ_EEENS2_IJNS8_IJLi0EEEENS8_IJLi1EEEENS8_IJLi2EEEENS8_IJLi4EEEENS8_IJLi3EEEEEEENS2_IJNS8_IJLi1ELi2EEEES10_SZ_NS8_IJLi5ELi6EEEENS8_IJLi7EEEEEEENS8_IJLi5ELi7ELi6EEEElEES17_NS2_IJNSI_INS2_IJSO_SQ_SQ_NSR_INS2_IJiNSL_IiLi256EEEEEELb0EEENSR_INS2_IJiNSL_IiLi128EEEEEELb0EEEEEENS2_IJSW_SX_SY_S10_SZ_EEENS2_IJS12_S10_SZ_S13_NS8_IJLi7ELi8EEEEEEENS8_IJLi5ELi6ELi7ELi8EEEElEES1J_EEES1J_NS_31BlockToCTileMap_M00_N0_M01AdaptILi256ELi128ENSI_INS2_IJSO_SQ_SQ_EEENS2_IJSW_SX_SY_EEENS2_IJS12_S10_SZ_EEENS8_IJLi3ELi4EEEElEEiEELb1EEEvPKT0_PKT1_T2_PT3_T4_T5_T6_T7_T8_T9_T10_T11_, .Lfunc_end3-_ZN2ck35kernel_gemm_multiple_d_xdl_cshuffleINS_34GridwiseGemmMultipleD_xdl_cshuffleIfffffNS_5TupleIJffEEEfNS_16tensor_operation12element_wise11PassThroughES6_NS5_14AddAddFastGeluELi1ELi256ELi256ELi128ELi32ELi8ELi8ELi16ELi16ELi8ELi2ENS_8SequenceIJLi4ELi64ELi1EEEENS8_IJLi1ELi0ELi2EEEESA_Li2ELi4ELi4ELb0ELi1ES9_SA_SA_Li2ELi4ELi4ELb0ELi1ELi1ELi1ENS8_IJLi1ELi32ELi1ELi8EEEELi2ELNS_13LoopSchedulerE0ELNS_15PipelineVersionE0EfLb0EEEffNS2_IJPKfSG_EEEfS6_S6_S7_NS_16TensorDescriptorINS2_IJNS_5EmbedINS2_IJiiEEENS2_IJiNS_17integral_constantIiLi1EEEEEELb0EEENS_11PassThroughIiEESQ_NS_7UnMergeINS2_IJiNSL_IiLi8EEEEEELb0EEESQ_EEENS2_IJNS8_IJLi0EEEENS8_IJLi1EEEENS8_IJLi2EEEENS8_IJLi4EEEENS8_IJLi3EEEEEEENS2_IJNS8_IJLi1ELi2EEEES10_SZ_NS8_IJLi5ELi6EEEENS8_IJLi7EEEEEEENS8_IJLi5ELi7ELi6EEEElEES17_NS2_IJNSI_INS2_IJSO_SQ_SQ_NSR_INS2_IJiNSL_IiLi256EEEEEELb0EEENSR_INS2_IJiNSL_IiLi128EEEEEELb0EEEEEENS2_IJSW_SX_SY_S10_SZ_EEENS2_IJS12_S10_SZ_S13_NS8_IJLi7ELi8EEEEEEENS8_IJLi5ELi6ELi7ELi8EEEElEES1J_EEES1J_NS_31BlockToCTileMap_M00_N0_M01AdaptILi256ELi128ENSI_INS2_IJSO_SQ_SQ_EEENS2_IJSW_SX_SY_EEENS2_IJS12_S10_SZ_EEENS8_IJLi3ELi4EEEElEEiEELb1EEEvPKT0_PKT1_T2_PT3_T4_T5_T6_T7_T8_T9_T10_T11_
                                        ; -- End function
	.set _ZN2ck35kernel_gemm_multiple_d_xdl_cshuffleINS_34GridwiseGemmMultipleD_xdl_cshuffleIfffffNS_5TupleIJffEEEfNS_16tensor_operation12element_wise11PassThroughES6_NS5_14AddAddFastGeluELi1ELi256ELi256ELi128ELi32ELi8ELi8ELi16ELi16ELi8ELi2ENS_8SequenceIJLi4ELi64ELi1EEEENS8_IJLi1ELi0ELi2EEEESA_Li2ELi4ELi4ELb0ELi1ES9_SA_SA_Li2ELi4ELi4ELb0ELi1ELi1ELi1ENS8_IJLi1ELi32ELi1ELi8EEEELi2ELNS_13LoopSchedulerE0ELNS_15PipelineVersionE0EfLb0EEEffNS2_IJPKfSG_EEEfS6_S6_S7_NS_16TensorDescriptorINS2_IJNS_5EmbedINS2_IJiiEEENS2_IJiNS_17integral_constantIiLi1EEEEEELb0EEENS_11PassThroughIiEESQ_NS_7UnMergeINS2_IJiNSL_IiLi8EEEEEELb0EEESQ_EEENS2_IJNS8_IJLi0EEEENS8_IJLi1EEEENS8_IJLi2EEEENS8_IJLi4EEEENS8_IJLi3EEEEEEENS2_IJNS8_IJLi1ELi2EEEES10_SZ_NS8_IJLi5ELi6EEEENS8_IJLi7EEEEEEENS8_IJLi5ELi7ELi6EEEElEES17_NS2_IJNSI_INS2_IJSO_SQ_SQ_NSR_INS2_IJiNSL_IiLi256EEEEEELb0EEENSR_INS2_IJiNSL_IiLi128EEEEEELb0EEEEEENS2_IJSW_SX_SY_S10_SZ_EEENS2_IJS12_S10_SZ_S13_NS8_IJLi7ELi8EEEEEEENS8_IJLi5ELi6ELi7ELi8EEEElEES1J_EEES1J_NS_31BlockToCTileMap_M00_N0_M01AdaptILi256ELi128ENSI_INS2_IJSO_SQ_SQ_EEENS2_IJSW_SX_SY_EEENS2_IJS12_S10_SZ_EEENS8_IJLi3ELi4EEEElEEiEELb1EEEvPKT0_PKT1_T2_PT3_T4_T5_T6_T7_T8_T9_T10_T11_.num_vgpr, 0
	.set _ZN2ck35kernel_gemm_multiple_d_xdl_cshuffleINS_34GridwiseGemmMultipleD_xdl_cshuffleIfffffNS_5TupleIJffEEEfNS_16tensor_operation12element_wise11PassThroughES6_NS5_14AddAddFastGeluELi1ELi256ELi256ELi128ELi32ELi8ELi8ELi16ELi16ELi8ELi2ENS_8SequenceIJLi4ELi64ELi1EEEENS8_IJLi1ELi0ELi2EEEESA_Li2ELi4ELi4ELb0ELi1ES9_SA_SA_Li2ELi4ELi4ELb0ELi1ELi1ELi1ENS8_IJLi1ELi32ELi1ELi8EEEELi2ELNS_13LoopSchedulerE0ELNS_15PipelineVersionE0EfLb0EEEffNS2_IJPKfSG_EEEfS6_S6_S7_NS_16TensorDescriptorINS2_IJNS_5EmbedINS2_IJiiEEENS2_IJiNS_17integral_constantIiLi1EEEEEELb0EEENS_11PassThroughIiEESQ_NS_7UnMergeINS2_IJiNSL_IiLi8EEEEEELb0EEESQ_EEENS2_IJNS8_IJLi0EEEENS8_IJLi1EEEENS8_IJLi2EEEENS8_IJLi4EEEENS8_IJLi3EEEEEEENS2_IJNS8_IJLi1ELi2EEEES10_SZ_NS8_IJLi5ELi6EEEENS8_IJLi7EEEEEEENS8_IJLi5ELi7ELi6EEEElEES17_NS2_IJNSI_INS2_IJSO_SQ_SQ_NSR_INS2_IJiNSL_IiLi256EEEEEELb0EEENSR_INS2_IJiNSL_IiLi128EEEEEELb0EEEEEENS2_IJSW_SX_SY_S10_SZ_EEENS2_IJS12_S10_SZ_S13_NS8_IJLi7ELi8EEEEEEENS8_IJLi5ELi6ELi7ELi8EEEElEES1J_EEES1J_NS_31BlockToCTileMap_M00_N0_M01AdaptILi256ELi128ENSI_INS2_IJSO_SQ_SQ_EEENS2_IJSW_SX_SY_EEENS2_IJS12_S10_SZ_EEENS8_IJLi3ELi4EEEElEEiEELb1EEEvPKT0_PKT1_T2_PT3_T4_T5_T6_T7_T8_T9_T10_T11_.num_agpr, 0
	.set _ZN2ck35kernel_gemm_multiple_d_xdl_cshuffleINS_34GridwiseGemmMultipleD_xdl_cshuffleIfffffNS_5TupleIJffEEEfNS_16tensor_operation12element_wise11PassThroughES6_NS5_14AddAddFastGeluELi1ELi256ELi256ELi128ELi32ELi8ELi8ELi16ELi16ELi8ELi2ENS_8SequenceIJLi4ELi64ELi1EEEENS8_IJLi1ELi0ELi2EEEESA_Li2ELi4ELi4ELb0ELi1ES9_SA_SA_Li2ELi4ELi4ELb0ELi1ELi1ELi1ENS8_IJLi1ELi32ELi1ELi8EEEELi2ELNS_13LoopSchedulerE0ELNS_15PipelineVersionE0EfLb0EEEffNS2_IJPKfSG_EEEfS6_S6_S7_NS_16TensorDescriptorINS2_IJNS_5EmbedINS2_IJiiEEENS2_IJiNS_17integral_constantIiLi1EEEEEELb0EEENS_11PassThroughIiEESQ_NS_7UnMergeINS2_IJiNSL_IiLi8EEEEEELb0EEESQ_EEENS2_IJNS8_IJLi0EEEENS8_IJLi1EEEENS8_IJLi2EEEENS8_IJLi4EEEENS8_IJLi3EEEEEEENS2_IJNS8_IJLi1ELi2EEEES10_SZ_NS8_IJLi5ELi6EEEENS8_IJLi7EEEEEEENS8_IJLi5ELi7ELi6EEEElEES17_NS2_IJNSI_INS2_IJSO_SQ_SQ_NSR_INS2_IJiNSL_IiLi256EEEEEELb0EEENSR_INS2_IJiNSL_IiLi128EEEEEELb0EEEEEENS2_IJSW_SX_SY_S10_SZ_EEENS2_IJS12_S10_SZ_S13_NS8_IJLi7ELi8EEEEEEENS8_IJLi5ELi6ELi7ELi8EEEElEES1J_EEES1J_NS_31BlockToCTileMap_M00_N0_M01AdaptILi256ELi128ENSI_INS2_IJSO_SQ_SQ_EEENS2_IJSW_SX_SY_EEENS2_IJS12_S10_SZ_EEENS8_IJLi3ELi4EEEElEEiEELb1EEEvPKT0_PKT1_T2_PT3_T4_T5_T6_T7_T8_T9_T10_T11_.numbered_sgpr, 0
	.set _ZN2ck35kernel_gemm_multiple_d_xdl_cshuffleINS_34GridwiseGemmMultipleD_xdl_cshuffleIfffffNS_5TupleIJffEEEfNS_16tensor_operation12element_wise11PassThroughES6_NS5_14AddAddFastGeluELi1ELi256ELi256ELi128ELi32ELi8ELi8ELi16ELi16ELi8ELi2ENS_8SequenceIJLi4ELi64ELi1EEEENS8_IJLi1ELi0ELi2EEEESA_Li2ELi4ELi4ELb0ELi1ES9_SA_SA_Li2ELi4ELi4ELb0ELi1ELi1ELi1ENS8_IJLi1ELi32ELi1ELi8EEEELi2ELNS_13LoopSchedulerE0ELNS_15PipelineVersionE0EfLb0EEEffNS2_IJPKfSG_EEEfS6_S6_S7_NS_16TensorDescriptorINS2_IJNS_5EmbedINS2_IJiiEEENS2_IJiNS_17integral_constantIiLi1EEEEEELb0EEENS_11PassThroughIiEESQ_NS_7UnMergeINS2_IJiNSL_IiLi8EEEEEELb0EEESQ_EEENS2_IJNS8_IJLi0EEEENS8_IJLi1EEEENS8_IJLi2EEEENS8_IJLi4EEEENS8_IJLi3EEEEEEENS2_IJNS8_IJLi1ELi2EEEES10_SZ_NS8_IJLi5ELi6EEEENS8_IJLi7EEEEEEENS8_IJLi5ELi7ELi6EEEElEES17_NS2_IJNSI_INS2_IJSO_SQ_SQ_NSR_INS2_IJiNSL_IiLi256EEEEEELb0EEENSR_INS2_IJiNSL_IiLi128EEEEEELb0EEEEEENS2_IJSW_SX_SY_S10_SZ_EEENS2_IJS12_S10_SZ_S13_NS8_IJLi7ELi8EEEEEEENS8_IJLi5ELi6ELi7ELi8EEEElEES1J_EEES1J_NS_31BlockToCTileMap_M00_N0_M01AdaptILi256ELi128ENSI_INS2_IJSO_SQ_SQ_EEENS2_IJSW_SX_SY_EEENS2_IJS12_S10_SZ_EEENS8_IJLi3ELi4EEEElEEiEELb1EEEvPKT0_PKT1_T2_PT3_T4_T5_T6_T7_T8_T9_T10_T11_.num_named_barrier, 0
	.set _ZN2ck35kernel_gemm_multiple_d_xdl_cshuffleINS_34GridwiseGemmMultipleD_xdl_cshuffleIfffffNS_5TupleIJffEEEfNS_16tensor_operation12element_wise11PassThroughES6_NS5_14AddAddFastGeluELi1ELi256ELi256ELi128ELi32ELi8ELi8ELi16ELi16ELi8ELi2ENS_8SequenceIJLi4ELi64ELi1EEEENS8_IJLi1ELi0ELi2EEEESA_Li2ELi4ELi4ELb0ELi1ES9_SA_SA_Li2ELi4ELi4ELb0ELi1ELi1ELi1ENS8_IJLi1ELi32ELi1ELi8EEEELi2ELNS_13LoopSchedulerE0ELNS_15PipelineVersionE0EfLb0EEEffNS2_IJPKfSG_EEEfS6_S6_S7_NS_16TensorDescriptorINS2_IJNS_5EmbedINS2_IJiiEEENS2_IJiNS_17integral_constantIiLi1EEEEEELb0EEENS_11PassThroughIiEESQ_NS_7UnMergeINS2_IJiNSL_IiLi8EEEEEELb0EEESQ_EEENS2_IJNS8_IJLi0EEEENS8_IJLi1EEEENS8_IJLi2EEEENS8_IJLi4EEEENS8_IJLi3EEEEEEENS2_IJNS8_IJLi1ELi2EEEES10_SZ_NS8_IJLi5ELi6EEEENS8_IJLi7EEEEEEENS8_IJLi5ELi7ELi6EEEElEES17_NS2_IJNSI_INS2_IJSO_SQ_SQ_NSR_INS2_IJiNSL_IiLi256EEEEEELb0EEENSR_INS2_IJiNSL_IiLi128EEEEEELb0EEEEEENS2_IJSW_SX_SY_S10_SZ_EEENS2_IJS12_S10_SZ_S13_NS8_IJLi7ELi8EEEEEEENS8_IJLi5ELi6ELi7ELi8EEEElEES1J_EEES1J_NS_31BlockToCTileMap_M00_N0_M01AdaptILi256ELi128ENSI_INS2_IJSO_SQ_SQ_EEENS2_IJSW_SX_SY_EEENS2_IJS12_S10_SZ_EEENS8_IJLi3ELi4EEEElEEiEELb1EEEvPKT0_PKT1_T2_PT3_T4_T5_T6_T7_T8_T9_T10_T11_.private_seg_size, 0
	.set _ZN2ck35kernel_gemm_multiple_d_xdl_cshuffleINS_34GridwiseGemmMultipleD_xdl_cshuffleIfffffNS_5TupleIJffEEEfNS_16tensor_operation12element_wise11PassThroughES6_NS5_14AddAddFastGeluELi1ELi256ELi256ELi128ELi32ELi8ELi8ELi16ELi16ELi8ELi2ENS_8SequenceIJLi4ELi64ELi1EEEENS8_IJLi1ELi0ELi2EEEESA_Li2ELi4ELi4ELb0ELi1ES9_SA_SA_Li2ELi4ELi4ELb0ELi1ELi1ELi1ENS8_IJLi1ELi32ELi1ELi8EEEELi2ELNS_13LoopSchedulerE0ELNS_15PipelineVersionE0EfLb0EEEffNS2_IJPKfSG_EEEfS6_S6_S7_NS_16TensorDescriptorINS2_IJNS_5EmbedINS2_IJiiEEENS2_IJiNS_17integral_constantIiLi1EEEEEELb0EEENS_11PassThroughIiEESQ_NS_7UnMergeINS2_IJiNSL_IiLi8EEEEEELb0EEESQ_EEENS2_IJNS8_IJLi0EEEENS8_IJLi1EEEENS8_IJLi2EEEENS8_IJLi4EEEENS8_IJLi3EEEEEEENS2_IJNS8_IJLi1ELi2EEEES10_SZ_NS8_IJLi5ELi6EEEENS8_IJLi7EEEEEEENS8_IJLi5ELi7ELi6EEEElEES17_NS2_IJNSI_INS2_IJSO_SQ_SQ_NSR_INS2_IJiNSL_IiLi256EEEEEELb0EEENSR_INS2_IJiNSL_IiLi128EEEEEELb0EEEEEENS2_IJSW_SX_SY_S10_SZ_EEENS2_IJS12_S10_SZ_S13_NS8_IJLi7ELi8EEEEEEENS8_IJLi5ELi6ELi7ELi8EEEElEES1J_EEES1J_NS_31BlockToCTileMap_M00_N0_M01AdaptILi256ELi128ENSI_INS2_IJSO_SQ_SQ_EEENS2_IJSW_SX_SY_EEENS2_IJS12_S10_SZ_EEENS8_IJLi3ELi4EEEElEEiEELb1EEEvPKT0_PKT1_T2_PT3_T4_T5_T6_T7_T8_T9_T10_T11_.uses_vcc, 0
	.set _ZN2ck35kernel_gemm_multiple_d_xdl_cshuffleINS_34GridwiseGemmMultipleD_xdl_cshuffleIfffffNS_5TupleIJffEEEfNS_16tensor_operation12element_wise11PassThroughES6_NS5_14AddAddFastGeluELi1ELi256ELi256ELi128ELi32ELi8ELi8ELi16ELi16ELi8ELi2ENS_8SequenceIJLi4ELi64ELi1EEEENS8_IJLi1ELi0ELi2EEEESA_Li2ELi4ELi4ELb0ELi1ES9_SA_SA_Li2ELi4ELi4ELb0ELi1ELi1ELi1ENS8_IJLi1ELi32ELi1ELi8EEEELi2ELNS_13LoopSchedulerE0ELNS_15PipelineVersionE0EfLb0EEEffNS2_IJPKfSG_EEEfS6_S6_S7_NS_16TensorDescriptorINS2_IJNS_5EmbedINS2_IJiiEEENS2_IJiNS_17integral_constantIiLi1EEEEEELb0EEENS_11PassThroughIiEESQ_NS_7UnMergeINS2_IJiNSL_IiLi8EEEEEELb0EEESQ_EEENS2_IJNS8_IJLi0EEEENS8_IJLi1EEEENS8_IJLi2EEEENS8_IJLi4EEEENS8_IJLi3EEEEEEENS2_IJNS8_IJLi1ELi2EEEES10_SZ_NS8_IJLi5ELi6EEEENS8_IJLi7EEEEEEENS8_IJLi5ELi7ELi6EEEElEES17_NS2_IJNSI_INS2_IJSO_SQ_SQ_NSR_INS2_IJiNSL_IiLi256EEEEEELb0EEENSR_INS2_IJiNSL_IiLi128EEEEEELb0EEEEEENS2_IJSW_SX_SY_S10_SZ_EEENS2_IJS12_S10_SZ_S13_NS8_IJLi7ELi8EEEEEEENS8_IJLi5ELi6ELi7ELi8EEEElEES1J_EEES1J_NS_31BlockToCTileMap_M00_N0_M01AdaptILi256ELi128ENSI_INS2_IJSO_SQ_SQ_EEENS2_IJSW_SX_SY_EEENS2_IJS12_S10_SZ_EEENS8_IJLi3ELi4EEEElEEiEELb1EEEvPKT0_PKT1_T2_PT3_T4_T5_T6_T7_T8_T9_T10_T11_.uses_flat_scratch, 0
	.set _ZN2ck35kernel_gemm_multiple_d_xdl_cshuffleINS_34GridwiseGemmMultipleD_xdl_cshuffleIfffffNS_5TupleIJffEEEfNS_16tensor_operation12element_wise11PassThroughES6_NS5_14AddAddFastGeluELi1ELi256ELi256ELi128ELi32ELi8ELi8ELi16ELi16ELi8ELi2ENS_8SequenceIJLi4ELi64ELi1EEEENS8_IJLi1ELi0ELi2EEEESA_Li2ELi4ELi4ELb0ELi1ES9_SA_SA_Li2ELi4ELi4ELb0ELi1ELi1ELi1ENS8_IJLi1ELi32ELi1ELi8EEEELi2ELNS_13LoopSchedulerE0ELNS_15PipelineVersionE0EfLb0EEEffNS2_IJPKfSG_EEEfS6_S6_S7_NS_16TensorDescriptorINS2_IJNS_5EmbedINS2_IJiiEEENS2_IJiNS_17integral_constantIiLi1EEEEEELb0EEENS_11PassThroughIiEESQ_NS_7UnMergeINS2_IJiNSL_IiLi8EEEEEELb0EEESQ_EEENS2_IJNS8_IJLi0EEEENS8_IJLi1EEEENS8_IJLi2EEEENS8_IJLi4EEEENS8_IJLi3EEEEEEENS2_IJNS8_IJLi1ELi2EEEES10_SZ_NS8_IJLi5ELi6EEEENS8_IJLi7EEEEEEENS8_IJLi5ELi7ELi6EEEElEES17_NS2_IJNSI_INS2_IJSO_SQ_SQ_NSR_INS2_IJiNSL_IiLi256EEEEEELb0EEENSR_INS2_IJiNSL_IiLi128EEEEEELb0EEEEEENS2_IJSW_SX_SY_S10_SZ_EEENS2_IJS12_S10_SZ_S13_NS8_IJLi7ELi8EEEEEEENS8_IJLi5ELi6ELi7ELi8EEEElEES1J_EEES1J_NS_31BlockToCTileMap_M00_N0_M01AdaptILi256ELi128ENSI_INS2_IJSO_SQ_SQ_EEENS2_IJSW_SX_SY_EEENS2_IJS12_S10_SZ_EEENS8_IJLi3ELi4EEEElEEiEELb1EEEvPKT0_PKT1_T2_PT3_T4_T5_T6_T7_T8_T9_T10_T11_.has_dyn_sized_stack, 0
	.set _ZN2ck35kernel_gemm_multiple_d_xdl_cshuffleINS_34GridwiseGemmMultipleD_xdl_cshuffleIfffffNS_5TupleIJffEEEfNS_16tensor_operation12element_wise11PassThroughES6_NS5_14AddAddFastGeluELi1ELi256ELi256ELi128ELi32ELi8ELi8ELi16ELi16ELi8ELi2ENS_8SequenceIJLi4ELi64ELi1EEEENS8_IJLi1ELi0ELi2EEEESA_Li2ELi4ELi4ELb0ELi1ES9_SA_SA_Li2ELi4ELi4ELb0ELi1ELi1ELi1ENS8_IJLi1ELi32ELi1ELi8EEEELi2ELNS_13LoopSchedulerE0ELNS_15PipelineVersionE0EfLb0EEEffNS2_IJPKfSG_EEEfS6_S6_S7_NS_16TensorDescriptorINS2_IJNS_5EmbedINS2_IJiiEEENS2_IJiNS_17integral_constantIiLi1EEEEEELb0EEENS_11PassThroughIiEESQ_NS_7UnMergeINS2_IJiNSL_IiLi8EEEEEELb0EEESQ_EEENS2_IJNS8_IJLi0EEEENS8_IJLi1EEEENS8_IJLi2EEEENS8_IJLi4EEEENS8_IJLi3EEEEEEENS2_IJNS8_IJLi1ELi2EEEES10_SZ_NS8_IJLi5ELi6EEEENS8_IJLi7EEEEEEENS8_IJLi5ELi7ELi6EEEElEES17_NS2_IJNSI_INS2_IJSO_SQ_SQ_NSR_INS2_IJiNSL_IiLi256EEEEEELb0EEENSR_INS2_IJiNSL_IiLi128EEEEEELb0EEEEEENS2_IJSW_SX_SY_S10_SZ_EEENS2_IJS12_S10_SZ_S13_NS8_IJLi7ELi8EEEEEEENS8_IJLi5ELi6ELi7ELi8EEEElEES1J_EEES1J_NS_31BlockToCTileMap_M00_N0_M01AdaptILi256ELi128ENSI_INS2_IJSO_SQ_SQ_EEENS2_IJSW_SX_SY_EEENS2_IJS12_S10_SZ_EEENS8_IJLi3ELi4EEEElEEiEELb1EEEvPKT0_PKT1_T2_PT3_T4_T5_T6_T7_T8_T9_T10_T11_.has_recursion, 0
	.set _ZN2ck35kernel_gemm_multiple_d_xdl_cshuffleINS_34GridwiseGemmMultipleD_xdl_cshuffleIfffffNS_5TupleIJffEEEfNS_16tensor_operation12element_wise11PassThroughES6_NS5_14AddAddFastGeluELi1ELi256ELi256ELi128ELi32ELi8ELi8ELi16ELi16ELi8ELi2ENS_8SequenceIJLi4ELi64ELi1EEEENS8_IJLi1ELi0ELi2EEEESA_Li2ELi4ELi4ELb0ELi1ES9_SA_SA_Li2ELi4ELi4ELb0ELi1ELi1ELi1ENS8_IJLi1ELi32ELi1ELi8EEEELi2ELNS_13LoopSchedulerE0ELNS_15PipelineVersionE0EfLb0EEEffNS2_IJPKfSG_EEEfS6_S6_S7_NS_16TensorDescriptorINS2_IJNS_5EmbedINS2_IJiiEEENS2_IJiNS_17integral_constantIiLi1EEEEEELb0EEENS_11PassThroughIiEESQ_NS_7UnMergeINS2_IJiNSL_IiLi8EEEEEELb0EEESQ_EEENS2_IJNS8_IJLi0EEEENS8_IJLi1EEEENS8_IJLi2EEEENS8_IJLi4EEEENS8_IJLi3EEEEEEENS2_IJNS8_IJLi1ELi2EEEES10_SZ_NS8_IJLi5ELi6EEEENS8_IJLi7EEEEEEENS8_IJLi5ELi7ELi6EEEElEES17_NS2_IJNSI_INS2_IJSO_SQ_SQ_NSR_INS2_IJiNSL_IiLi256EEEEEELb0EEENSR_INS2_IJiNSL_IiLi128EEEEEELb0EEEEEENS2_IJSW_SX_SY_S10_SZ_EEENS2_IJS12_S10_SZ_S13_NS8_IJLi7ELi8EEEEEEENS8_IJLi5ELi6ELi7ELi8EEEElEES1J_EEES1J_NS_31BlockToCTileMap_M00_N0_M01AdaptILi256ELi128ENSI_INS2_IJSO_SQ_SQ_EEENS2_IJSW_SX_SY_EEENS2_IJS12_S10_SZ_EEENS8_IJLi3ELi4EEEElEEiEELb1EEEvPKT0_PKT1_T2_PT3_T4_T5_T6_T7_T8_T9_T10_T11_.has_indirect_call, 0
	.section	.AMDGPU.csdata,"",@progbits
; Kernel info:
; codeLenInByte = 4
; TotalNumSgprs: 4
; NumVgprs: 0
; ScratchSize: 0
; MemoryBound: 0
; FloatMode: 240
; IeeeMode: 1
; LDSByteSize: 0 bytes/workgroup (compile time only)
; SGPRBlocks: 0
; VGPRBlocks: 0
; NumSGPRsForWavesPerEU: 4
; NumVGPRsForWavesPerEU: 1
; Occupancy: 10
; WaveLimiterHint : 0
; COMPUTE_PGM_RSRC2:SCRATCH_EN: 0
; COMPUTE_PGM_RSRC2:USER_SGPR: 6
; COMPUTE_PGM_RSRC2:TRAP_HANDLER: 0
; COMPUTE_PGM_RSRC2:TGID_X_EN: 1
; COMPUTE_PGM_RSRC2:TGID_Y_EN: 0
; COMPUTE_PGM_RSRC2:TGID_Z_EN: 0
; COMPUTE_PGM_RSRC2:TIDIG_COMP_CNT: 0
	.section	.text._ZN2ck35kernel_gemm_multiple_d_xdl_cshuffleINS_34GridwiseGemmMultipleD_xdl_cshuffleIfffffNS_5TupleIJffEEEfNS_16tensor_operation12element_wise11PassThroughES6_NS5_14AddAddFastGeluELi1ELi256ELi256ELi128ELi32ELi8ELi8ELi16ELi16ELi8ELi2ENS_8SequenceIJLi4ELi64ELi1EEEENS8_IJLi1ELi0ELi2EEEESA_Li2ELi4ELi4ELb0ELi1ES9_SA_SA_Li2ELi4ELi4ELb0ELi1ELi1ELi1ENS8_IJLi1ELi32ELi1ELi8EEEELi2ELNS_13LoopSchedulerE0ELNS_15PipelineVersionE0EfLb0EEEffNS2_IJPKfSG_EEEfS6_S6_S7_NS_16TensorDescriptorINS2_IJNS_5EmbedINS2_IJiiEEENS2_IJiNS_17integral_constantIiLi1EEEEEELb0EEENS_11PassThroughIiEESQ_NS_7UnMergeINS2_IJiNSL_IiLi8EEEEEELb0EEESQ_EEENS2_IJNS8_IJLi0EEEENS8_IJLi1EEEENS8_IJLi2EEEENS8_IJLi4EEEENS8_IJLi3EEEEEEENS2_IJNS8_IJLi1ELi2EEEES10_SZ_NS8_IJLi5ELi6EEEENS8_IJLi7EEEEEEENS8_IJLi5ELi7ELi6EEEElEES17_NS2_IJNSI_INS2_IJSO_SQ_SQ_NSR_INS2_IJiNSL_IiLi256EEEEEELb0EEENSR_INS2_IJiNSL_IiLi128EEEEEELb0EEEEEENS2_IJSW_SX_SY_S10_SZ_EEENS2_IJS12_S10_SZ_S13_NS8_IJLi7ELi8EEEEEEENS8_IJLi5ELi6ELi7ELi8EEEElEES1J_EEES1J_NS_31BlockToCTileMap_M00_N0_M01AdaptILi256ELi128ENSI_INS2_IJSO_SQ_SQ_EEENS2_IJSW_SX_SY_EEENS2_IJS12_S10_SZ_EEENS8_IJLi3ELi4EEEElEEiEELb0EEEvPKT0_PKT1_T2_PT3_T4_T5_T6_T7_T8_T9_T10_T11_,"axG",@progbits,_ZN2ck35kernel_gemm_multiple_d_xdl_cshuffleINS_34GridwiseGemmMultipleD_xdl_cshuffleIfffffNS_5TupleIJffEEEfNS_16tensor_operation12element_wise11PassThroughES6_NS5_14AddAddFastGeluELi1ELi256ELi256ELi128ELi32ELi8ELi8ELi16ELi16ELi8ELi2ENS_8SequenceIJLi4ELi64ELi1EEEENS8_IJLi1ELi0ELi2EEEESA_Li2ELi4ELi4ELb0ELi1ES9_SA_SA_Li2ELi4ELi4ELb0ELi1ELi1ELi1ENS8_IJLi1ELi32ELi1ELi8EEEELi2ELNS_13LoopSchedulerE0ELNS_15PipelineVersionE0EfLb0EEEffNS2_IJPKfSG_EEEfS6_S6_S7_NS_16TensorDescriptorINS2_IJNS_5EmbedINS2_IJiiEEENS2_IJiNS_17integral_constantIiLi1EEEEEELb0EEENS_11PassThroughIiEESQ_NS_7UnMergeINS2_IJiNSL_IiLi8EEEEEELb0EEESQ_EEENS2_IJNS8_IJLi0EEEENS8_IJLi1EEEENS8_IJLi2EEEENS8_IJLi4EEEENS8_IJLi3EEEEEEENS2_IJNS8_IJLi1ELi2EEEES10_SZ_NS8_IJLi5ELi6EEEENS8_IJLi7EEEEEEENS8_IJLi5ELi7ELi6EEEElEES17_NS2_IJNSI_INS2_IJSO_SQ_SQ_NSR_INS2_IJiNSL_IiLi256EEEEEELb0EEENSR_INS2_IJiNSL_IiLi128EEEEEELb0EEEEEENS2_IJSW_SX_SY_S10_SZ_EEENS2_IJS12_S10_SZ_S13_NS8_IJLi7ELi8EEEEEEENS8_IJLi5ELi6ELi7ELi8EEEElEES1J_EEES1J_NS_31BlockToCTileMap_M00_N0_M01AdaptILi256ELi128ENSI_INS2_IJSO_SQ_SQ_EEENS2_IJSW_SX_SY_EEENS2_IJS12_S10_SZ_EEENS8_IJLi3ELi4EEEElEEiEELb0EEEvPKT0_PKT1_T2_PT3_T4_T5_T6_T7_T8_T9_T10_T11_,comdat
	.protected	_ZN2ck35kernel_gemm_multiple_d_xdl_cshuffleINS_34GridwiseGemmMultipleD_xdl_cshuffleIfffffNS_5TupleIJffEEEfNS_16tensor_operation12element_wise11PassThroughES6_NS5_14AddAddFastGeluELi1ELi256ELi256ELi128ELi32ELi8ELi8ELi16ELi16ELi8ELi2ENS_8SequenceIJLi4ELi64ELi1EEEENS8_IJLi1ELi0ELi2EEEESA_Li2ELi4ELi4ELb0ELi1ES9_SA_SA_Li2ELi4ELi4ELb0ELi1ELi1ELi1ENS8_IJLi1ELi32ELi1ELi8EEEELi2ELNS_13LoopSchedulerE0ELNS_15PipelineVersionE0EfLb0EEEffNS2_IJPKfSG_EEEfS6_S6_S7_NS_16TensorDescriptorINS2_IJNS_5EmbedINS2_IJiiEEENS2_IJiNS_17integral_constantIiLi1EEEEEELb0EEENS_11PassThroughIiEESQ_NS_7UnMergeINS2_IJiNSL_IiLi8EEEEEELb0EEESQ_EEENS2_IJNS8_IJLi0EEEENS8_IJLi1EEEENS8_IJLi2EEEENS8_IJLi4EEEENS8_IJLi3EEEEEEENS2_IJNS8_IJLi1ELi2EEEES10_SZ_NS8_IJLi5ELi6EEEENS8_IJLi7EEEEEEENS8_IJLi5ELi7ELi6EEEElEES17_NS2_IJNSI_INS2_IJSO_SQ_SQ_NSR_INS2_IJiNSL_IiLi256EEEEEELb0EEENSR_INS2_IJiNSL_IiLi128EEEEEELb0EEEEEENS2_IJSW_SX_SY_S10_SZ_EEENS2_IJS12_S10_SZ_S13_NS8_IJLi7ELi8EEEEEEENS8_IJLi5ELi6ELi7ELi8EEEElEES1J_EEES1J_NS_31BlockToCTileMap_M00_N0_M01AdaptILi256ELi128ENSI_INS2_IJSO_SQ_SQ_EEENS2_IJSW_SX_SY_EEENS2_IJS12_S10_SZ_EEENS8_IJLi3ELi4EEEElEEiEELb0EEEvPKT0_PKT1_T2_PT3_T4_T5_T6_T7_T8_T9_T10_T11_ ; -- Begin function _ZN2ck35kernel_gemm_multiple_d_xdl_cshuffleINS_34GridwiseGemmMultipleD_xdl_cshuffleIfffffNS_5TupleIJffEEEfNS_16tensor_operation12element_wise11PassThroughES6_NS5_14AddAddFastGeluELi1ELi256ELi256ELi128ELi32ELi8ELi8ELi16ELi16ELi8ELi2ENS_8SequenceIJLi4ELi64ELi1EEEENS8_IJLi1ELi0ELi2EEEESA_Li2ELi4ELi4ELb0ELi1ES9_SA_SA_Li2ELi4ELi4ELb0ELi1ELi1ELi1ENS8_IJLi1ELi32ELi1ELi8EEEELi2ELNS_13LoopSchedulerE0ELNS_15PipelineVersionE0EfLb0EEEffNS2_IJPKfSG_EEEfS6_S6_S7_NS_16TensorDescriptorINS2_IJNS_5EmbedINS2_IJiiEEENS2_IJiNS_17integral_constantIiLi1EEEEEELb0EEENS_11PassThroughIiEESQ_NS_7UnMergeINS2_IJiNSL_IiLi8EEEEEELb0EEESQ_EEENS2_IJNS8_IJLi0EEEENS8_IJLi1EEEENS8_IJLi2EEEENS8_IJLi4EEEENS8_IJLi3EEEEEEENS2_IJNS8_IJLi1ELi2EEEES10_SZ_NS8_IJLi5ELi6EEEENS8_IJLi7EEEEEEENS8_IJLi5ELi7ELi6EEEElEES17_NS2_IJNSI_INS2_IJSO_SQ_SQ_NSR_INS2_IJiNSL_IiLi256EEEEEELb0EEENSR_INS2_IJiNSL_IiLi128EEEEEELb0EEEEEENS2_IJSW_SX_SY_S10_SZ_EEENS2_IJS12_S10_SZ_S13_NS8_IJLi7ELi8EEEEEEENS8_IJLi5ELi6ELi7ELi8EEEElEES1J_EEES1J_NS_31BlockToCTileMap_M00_N0_M01AdaptILi256ELi128ENSI_INS2_IJSO_SQ_SQ_EEENS2_IJSW_SX_SY_EEENS2_IJS12_S10_SZ_EEENS8_IJLi3ELi4EEEElEEiEELb0EEEvPKT0_PKT1_T2_PT3_T4_T5_T6_T7_T8_T9_T10_T11_
	.globl	_ZN2ck35kernel_gemm_multiple_d_xdl_cshuffleINS_34GridwiseGemmMultipleD_xdl_cshuffleIfffffNS_5TupleIJffEEEfNS_16tensor_operation12element_wise11PassThroughES6_NS5_14AddAddFastGeluELi1ELi256ELi256ELi128ELi32ELi8ELi8ELi16ELi16ELi8ELi2ENS_8SequenceIJLi4ELi64ELi1EEEENS8_IJLi1ELi0ELi2EEEESA_Li2ELi4ELi4ELb0ELi1ES9_SA_SA_Li2ELi4ELi4ELb0ELi1ELi1ELi1ENS8_IJLi1ELi32ELi1ELi8EEEELi2ELNS_13LoopSchedulerE0ELNS_15PipelineVersionE0EfLb0EEEffNS2_IJPKfSG_EEEfS6_S6_S7_NS_16TensorDescriptorINS2_IJNS_5EmbedINS2_IJiiEEENS2_IJiNS_17integral_constantIiLi1EEEEEELb0EEENS_11PassThroughIiEESQ_NS_7UnMergeINS2_IJiNSL_IiLi8EEEEEELb0EEESQ_EEENS2_IJNS8_IJLi0EEEENS8_IJLi1EEEENS8_IJLi2EEEENS8_IJLi4EEEENS8_IJLi3EEEEEEENS2_IJNS8_IJLi1ELi2EEEES10_SZ_NS8_IJLi5ELi6EEEENS8_IJLi7EEEEEEENS8_IJLi5ELi7ELi6EEEElEES17_NS2_IJNSI_INS2_IJSO_SQ_SQ_NSR_INS2_IJiNSL_IiLi256EEEEEELb0EEENSR_INS2_IJiNSL_IiLi128EEEEEELb0EEEEEENS2_IJSW_SX_SY_S10_SZ_EEENS2_IJS12_S10_SZ_S13_NS8_IJLi7ELi8EEEEEEENS8_IJLi5ELi6ELi7ELi8EEEElEES1J_EEES1J_NS_31BlockToCTileMap_M00_N0_M01AdaptILi256ELi128ENSI_INS2_IJSO_SQ_SQ_EEENS2_IJSW_SX_SY_EEENS2_IJS12_S10_SZ_EEENS8_IJLi3ELi4EEEElEEiEELb0EEEvPKT0_PKT1_T2_PT3_T4_T5_T6_T7_T8_T9_T10_T11_
	.p2align	8
	.type	_ZN2ck35kernel_gemm_multiple_d_xdl_cshuffleINS_34GridwiseGemmMultipleD_xdl_cshuffleIfffffNS_5TupleIJffEEEfNS_16tensor_operation12element_wise11PassThroughES6_NS5_14AddAddFastGeluELi1ELi256ELi256ELi128ELi32ELi8ELi8ELi16ELi16ELi8ELi2ENS_8SequenceIJLi4ELi64ELi1EEEENS8_IJLi1ELi0ELi2EEEESA_Li2ELi4ELi4ELb0ELi1ES9_SA_SA_Li2ELi4ELi4ELb0ELi1ELi1ELi1ENS8_IJLi1ELi32ELi1ELi8EEEELi2ELNS_13LoopSchedulerE0ELNS_15PipelineVersionE0EfLb0EEEffNS2_IJPKfSG_EEEfS6_S6_S7_NS_16TensorDescriptorINS2_IJNS_5EmbedINS2_IJiiEEENS2_IJiNS_17integral_constantIiLi1EEEEEELb0EEENS_11PassThroughIiEESQ_NS_7UnMergeINS2_IJiNSL_IiLi8EEEEEELb0EEESQ_EEENS2_IJNS8_IJLi0EEEENS8_IJLi1EEEENS8_IJLi2EEEENS8_IJLi4EEEENS8_IJLi3EEEEEEENS2_IJNS8_IJLi1ELi2EEEES10_SZ_NS8_IJLi5ELi6EEEENS8_IJLi7EEEEEEENS8_IJLi5ELi7ELi6EEEElEES17_NS2_IJNSI_INS2_IJSO_SQ_SQ_NSR_INS2_IJiNSL_IiLi256EEEEEELb0EEENSR_INS2_IJiNSL_IiLi128EEEEEELb0EEEEEENS2_IJSW_SX_SY_S10_SZ_EEENS2_IJS12_S10_SZ_S13_NS8_IJLi7ELi8EEEEEEENS8_IJLi5ELi6ELi7ELi8EEEElEES1J_EEES1J_NS_31BlockToCTileMap_M00_N0_M01AdaptILi256ELi128ENSI_INS2_IJSO_SQ_SQ_EEENS2_IJSW_SX_SY_EEENS2_IJS12_S10_SZ_EEENS8_IJLi3ELi4EEEElEEiEELb0EEEvPKT0_PKT1_T2_PT3_T4_T5_T6_T7_T8_T9_T10_T11_,@function
_ZN2ck35kernel_gemm_multiple_d_xdl_cshuffleINS_34GridwiseGemmMultipleD_xdl_cshuffleIfffffNS_5TupleIJffEEEfNS_16tensor_operation12element_wise11PassThroughES6_NS5_14AddAddFastGeluELi1ELi256ELi256ELi128ELi32ELi8ELi8ELi16ELi16ELi8ELi2ENS_8SequenceIJLi4ELi64ELi1EEEENS8_IJLi1ELi0ELi2EEEESA_Li2ELi4ELi4ELb0ELi1ES9_SA_SA_Li2ELi4ELi4ELb0ELi1ELi1ELi1ENS8_IJLi1ELi32ELi1ELi8EEEELi2ELNS_13LoopSchedulerE0ELNS_15PipelineVersionE0EfLb0EEEffNS2_IJPKfSG_EEEfS6_S6_S7_NS_16TensorDescriptorINS2_IJNS_5EmbedINS2_IJiiEEENS2_IJiNS_17integral_constantIiLi1EEEEEELb0EEENS_11PassThroughIiEESQ_NS_7UnMergeINS2_IJiNSL_IiLi8EEEEEELb0EEESQ_EEENS2_IJNS8_IJLi0EEEENS8_IJLi1EEEENS8_IJLi2EEEENS8_IJLi4EEEENS8_IJLi3EEEEEEENS2_IJNS8_IJLi1ELi2EEEES10_SZ_NS8_IJLi5ELi6EEEENS8_IJLi7EEEEEEENS8_IJLi5ELi7ELi6EEEElEES17_NS2_IJNSI_INS2_IJSO_SQ_SQ_NSR_INS2_IJiNSL_IiLi256EEEEEELb0EEENSR_INS2_IJiNSL_IiLi128EEEEEELb0EEEEEENS2_IJSW_SX_SY_S10_SZ_EEENS2_IJS12_S10_SZ_S13_NS8_IJLi7ELi8EEEEEEENS8_IJLi5ELi6ELi7ELi8EEEElEES1J_EEES1J_NS_31BlockToCTileMap_M00_N0_M01AdaptILi256ELi128ENSI_INS2_IJSO_SQ_SQ_EEENS2_IJSW_SX_SY_EEENS2_IJS12_S10_SZ_EEENS8_IJLi3ELi4EEEElEEiEELb0EEEvPKT0_PKT1_T2_PT3_T4_T5_T6_T7_T8_T9_T10_T11_: ; @_ZN2ck35kernel_gemm_multiple_d_xdl_cshuffleINS_34GridwiseGemmMultipleD_xdl_cshuffleIfffffNS_5TupleIJffEEEfNS_16tensor_operation12element_wise11PassThroughES6_NS5_14AddAddFastGeluELi1ELi256ELi256ELi128ELi32ELi8ELi8ELi16ELi16ELi8ELi2ENS_8SequenceIJLi4ELi64ELi1EEEENS8_IJLi1ELi0ELi2EEEESA_Li2ELi4ELi4ELb0ELi1ES9_SA_SA_Li2ELi4ELi4ELb0ELi1ELi1ELi1ENS8_IJLi1ELi32ELi1ELi8EEEELi2ELNS_13LoopSchedulerE0ELNS_15PipelineVersionE0EfLb0EEEffNS2_IJPKfSG_EEEfS6_S6_S7_NS_16TensorDescriptorINS2_IJNS_5EmbedINS2_IJiiEEENS2_IJiNS_17integral_constantIiLi1EEEEEELb0EEENS_11PassThroughIiEESQ_NS_7UnMergeINS2_IJiNSL_IiLi8EEEEEELb0EEESQ_EEENS2_IJNS8_IJLi0EEEENS8_IJLi1EEEENS8_IJLi2EEEENS8_IJLi4EEEENS8_IJLi3EEEEEEENS2_IJNS8_IJLi1ELi2EEEES10_SZ_NS8_IJLi5ELi6EEEENS8_IJLi7EEEEEEENS8_IJLi5ELi7ELi6EEEElEES17_NS2_IJNSI_INS2_IJSO_SQ_SQ_NSR_INS2_IJiNSL_IiLi256EEEEEELb0EEENSR_INS2_IJiNSL_IiLi128EEEEEELb0EEEEEENS2_IJSW_SX_SY_S10_SZ_EEENS2_IJS12_S10_SZ_S13_NS8_IJLi7ELi8EEEEEEENS8_IJLi5ELi6ELi7ELi8EEEElEES1J_EEES1J_NS_31BlockToCTileMap_M00_N0_M01AdaptILi256ELi128ENSI_INS2_IJSO_SQ_SQ_EEENS2_IJSW_SX_SY_EEENS2_IJS12_S10_SZ_EEENS8_IJLi3ELi4EEEElEEiEELb0EEEvPKT0_PKT1_T2_PT3_T4_T5_T6_T7_T8_T9_T10_T11_
; %bb.0:
	s_endpgm
	.section	.rodata,"a",@progbits
	.p2align	6, 0x0
	.amdhsa_kernel _ZN2ck35kernel_gemm_multiple_d_xdl_cshuffleINS_34GridwiseGemmMultipleD_xdl_cshuffleIfffffNS_5TupleIJffEEEfNS_16tensor_operation12element_wise11PassThroughES6_NS5_14AddAddFastGeluELi1ELi256ELi256ELi128ELi32ELi8ELi8ELi16ELi16ELi8ELi2ENS_8SequenceIJLi4ELi64ELi1EEEENS8_IJLi1ELi0ELi2EEEESA_Li2ELi4ELi4ELb0ELi1ES9_SA_SA_Li2ELi4ELi4ELb0ELi1ELi1ELi1ENS8_IJLi1ELi32ELi1ELi8EEEELi2ELNS_13LoopSchedulerE0ELNS_15PipelineVersionE0EfLb0EEEffNS2_IJPKfSG_EEEfS6_S6_S7_NS_16TensorDescriptorINS2_IJNS_5EmbedINS2_IJiiEEENS2_IJiNS_17integral_constantIiLi1EEEEEELb0EEENS_11PassThroughIiEESQ_NS_7UnMergeINS2_IJiNSL_IiLi8EEEEEELb0EEESQ_EEENS2_IJNS8_IJLi0EEEENS8_IJLi1EEEENS8_IJLi2EEEENS8_IJLi4EEEENS8_IJLi3EEEEEEENS2_IJNS8_IJLi1ELi2EEEES10_SZ_NS8_IJLi5ELi6EEEENS8_IJLi7EEEEEEENS8_IJLi5ELi7ELi6EEEElEES17_NS2_IJNSI_INS2_IJSO_SQ_SQ_NSR_INS2_IJiNSL_IiLi256EEEEEELb0EEENSR_INS2_IJiNSL_IiLi128EEEEEELb0EEEEEENS2_IJSW_SX_SY_S10_SZ_EEENS2_IJS12_S10_SZ_S13_NS8_IJLi7ELi8EEEEEEENS8_IJLi5ELi6ELi7ELi8EEEElEES1J_EEES1J_NS_31BlockToCTileMap_M00_N0_M01AdaptILi256ELi128ENSI_INS2_IJSO_SQ_SQ_EEENS2_IJSW_SX_SY_EEENS2_IJS12_S10_SZ_EEENS8_IJLi3ELi4EEEElEEiEELb0EEEvPKT0_PKT1_T2_PT3_T4_T5_T6_T7_T8_T9_T10_T11_
		.amdhsa_group_segment_fixed_size 0
		.amdhsa_private_segment_fixed_size 0
		.amdhsa_kernarg_size 364
		.amdhsa_user_sgpr_count 6
		.amdhsa_user_sgpr_private_segment_buffer 1
		.amdhsa_user_sgpr_dispatch_ptr 0
		.amdhsa_user_sgpr_queue_ptr 0
		.amdhsa_user_sgpr_kernarg_segment_ptr 1
		.amdhsa_user_sgpr_dispatch_id 0
		.amdhsa_user_sgpr_flat_scratch_init 0
		.amdhsa_user_sgpr_private_segment_size 0
		.amdhsa_uses_dynamic_stack 0
		.amdhsa_system_sgpr_private_segment_wavefront_offset 0
		.amdhsa_system_sgpr_workgroup_id_x 1
		.amdhsa_system_sgpr_workgroup_id_y 0
		.amdhsa_system_sgpr_workgroup_id_z 0
		.amdhsa_system_sgpr_workgroup_info 0
		.amdhsa_system_vgpr_workitem_id 0
		.amdhsa_next_free_vgpr 1
		.amdhsa_next_free_sgpr 0
		.amdhsa_reserve_vcc 0
		.amdhsa_reserve_flat_scratch 0
		.amdhsa_float_round_mode_32 0
		.amdhsa_float_round_mode_16_64 0
		.amdhsa_float_denorm_mode_32 3
		.amdhsa_float_denorm_mode_16_64 3
		.amdhsa_dx10_clamp 1
		.amdhsa_ieee_mode 1
		.amdhsa_fp16_overflow 0
		.amdhsa_exception_fp_ieee_invalid_op 0
		.amdhsa_exception_fp_denorm_src 0
		.amdhsa_exception_fp_ieee_div_zero 0
		.amdhsa_exception_fp_ieee_overflow 0
		.amdhsa_exception_fp_ieee_underflow 0
		.amdhsa_exception_fp_ieee_inexact 0
		.amdhsa_exception_int_div_zero 0
	.end_amdhsa_kernel
	.section	.text._ZN2ck35kernel_gemm_multiple_d_xdl_cshuffleINS_34GridwiseGemmMultipleD_xdl_cshuffleIfffffNS_5TupleIJffEEEfNS_16tensor_operation12element_wise11PassThroughES6_NS5_14AddAddFastGeluELi1ELi256ELi256ELi128ELi32ELi8ELi8ELi16ELi16ELi8ELi2ENS_8SequenceIJLi4ELi64ELi1EEEENS8_IJLi1ELi0ELi2EEEESA_Li2ELi4ELi4ELb0ELi1ES9_SA_SA_Li2ELi4ELi4ELb0ELi1ELi1ELi1ENS8_IJLi1ELi32ELi1ELi8EEEELi2ELNS_13LoopSchedulerE0ELNS_15PipelineVersionE0EfLb0EEEffNS2_IJPKfSG_EEEfS6_S6_S7_NS_16TensorDescriptorINS2_IJNS_5EmbedINS2_IJiiEEENS2_IJiNS_17integral_constantIiLi1EEEEEELb0EEENS_11PassThroughIiEESQ_NS_7UnMergeINS2_IJiNSL_IiLi8EEEEEELb0EEESQ_EEENS2_IJNS8_IJLi0EEEENS8_IJLi1EEEENS8_IJLi2EEEENS8_IJLi4EEEENS8_IJLi3EEEEEEENS2_IJNS8_IJLi1ELi2EEEES10_SZ_NS8_IJLi5ELi6EEEENS8_IJLi7EEEEEEENS8_IJLi5ELi7ELi6EEEElEES17_NS2_IJNSI_INS2_IJSO_SQ_SQ_NSR_INS2_IJiNSL_IiLi256EEEEEELb0EEENSR_INS2_IJiNSL_IiLi128EEEEEELb0EEEEEENS2_IJSW_SX_SY_S10_SZ_EEENS2_IJS12_S10_SZ_S13_NS8_IJLi7ELi8EEEEEEENS8_IJLi5ELi6ELi7ELi8EEEElEES1J_EEES1J_NS_31BlockToCTileMap_M00_N0_M01AdaptILi256ELi128ENSI_INS2_IJSO_SQ_SQ_EEENS2_IJSW_SX_SY_EEENS2_IJS12_S10_SZ_EEENS8_IJLi3ELi4EEEElEEiEELb0EEEvPKT0_PKT1_T2_PT3_T4_T5_T6_T7_T8_T9_T10_T11_,"axG",@progbits,_ZN2ck35kernel_gemm_multiple_d_xdl_cshuffleINS_34GridwiseGemmMultipleD_xdl_cshuffleIfffffNS_5TupleIJffEEEfNS_16tensor_operation12element_wise11PassThroughES6_NS5_14AddAddFastGeluELi1ELi256ELi256ELi128ELi32ELi8ELi8ELi16ELi16ELi8ELi2ENS_8SequenceIJLi4ELi64ELi1EEEENS8_IJLi1ELi0ELi2EEEESA_Li2ELi4ELi4ELb0ELi1ES9_SA_SA_Li2ELi4ELi4ELb0ELi1ELi1ELi1ENS8_IJLi1ELi32ELi1ELi8EEEELi2ELNS_13LoopSchedulerE0ELNS_15PipelineVersionE0EfLb0EEEffNS2_IJPKfSG_EEEfS6_S6_S7_NS_16TensorDescriptorINS2_IJNS_5EmbedINS2_IJiiEEENS2_IJiNS_17integral_constantIiLi1EEEEEELb0EEENS_11PassThroughIiEESQ_NS_7UnMergeINS2_IJiNSL_IiLi8EEEEEELb0EEESQ_EEENS2_IJNS8_IJLi0EEEENS8_IJLi1EEEENS8_IJLi2EEEENS8_IJLi4EEEENS8_IJLi3EEEEEEENS2_IJNS8_IJLi1ELi2EEEES10_SZ_NS8_IJLi5ELi6EEEENS8_IJLi7EEEEEEENS8_IJLi5ELi7ELi6EEEElEES17_NS2_IJNSI_INS2_IJSO_SQ_SQ_NSR_INS2_IJiNSL_IiLi256EEEEEELb0EEENSR_INS2_IJiNSL_IiLi128EEEEEELb0EEEEEENS2_IJSW_SX_SY_S10_SZ_EEENS2_IJS12_S10_SZ_S13_NS8_IJLi7ELi8EEEEEEENS8_IJLi5ELi6ELi7ELi8EEEElEES1J_EEES1J_NS_31BlockToCTileMap_M00_N0_M01AdaptILi256ELi128ENSI_INS2_IJSO_SQ_SQ_EEENS2_IJSW_SX_SY_EEENS2_IJS12_S10_SZ_EEENS8_IJLi3ELi4EEEElEEiEELb0EEEvPKT0_PKT1_T2_PT3_T4_T5_T6_T7_T8_T9_T10_T11_,comdat
.Lfunc_end4:
	.size	_ZN2ck35kernel_gemm_multiple_d_xdl_cshuffleINS_34GridwiseGemmMultipleD_xdl_cshuffleIfffffNS_5TupleIJffEEEfNS_16tensor_operation12element_wise11PassThroughES6_NS5_14AddAddFastGeluELi1ELi256ELi256ELi128ELi32ELi8ELi8ELi16ELi16ELi8ELi2ENS_8SequenceIJLi4ELi64ELi1EEEENS8_IJLi1ELi0ELi2EEEESA_Li2ELi4ELi4ELb0ELi1ES9_SA_SA_Li2ELi4ELi4ELb0ELi1ELi1ELi1ENS8_IJLi1ELi32ELi1ELi8EEEELi2ELNS_13LoopSchedulerE0ELNS_15PipelineVersionE0EfLb0EEEffNS2_IJPKfSG_EEEfS6_S6_S7_NS_16TensorDescriptorINS2_IJNS_5EmbedINS2_IJiiEEENS2_IJiNS_17integral_constantIiLi1EEEEEELb0EEENS_11PassThroughIiEESQ_NS_7UnMergeINS2_IJiNSL_IiLi8EEEEEELb0EEESQ_EEENS2_IJNS8_IJLi0EEEENS8_IJLi1EEEENS8_IJLi2EEEENS8_IJLi4EEEENS8_IJLi3EEEEEEENS2_IJNS8_IJLi1ELi2EEEES10_SZ_NS8_IJLi5ELi6EEEENS8_IJLi7EEEEEEENS8_IJLi5ELi7ELi6EEEElEES17_NS2_IJNSI_INS2_IJSO_SQ_SQ_NSR_INS2_IJiNSL_IiLi256EEEEEELb0EEENSR_INS2_IJiNSL_IiLi128EEEEEELb0EEEEEENS2_IJSW_SX_SY_S10_SZ_EEENS2_IJS12_S10_SZ_S13_NS8_IJLi7ELi8EEEEEEENS8_IJLi5ELi6ELi7ELi8EEEElEES1J_EEES1J_NS_31BlockToCTileMap_M00_N0_M01AdaptILi256ELi128ENSI_INS2_IJSO_SQ_SQ_EEENS2_IJSW_SX_SY_EEENS2_IJS12_S10_SZ_EEENS8_IJLi3ELi4EEEElEEiEELb0EEEvPKT0_PKT1_T2_PT3_T4_T5_T6_T7_T8_T9_T10_T11_, .Lfunc_end4-_ZN2ck35kernel_gemm_multiple_d_xdl_cshuffleINS_34GridwiseGemmMultipleD_xdl_cshuffleIfffffNS_5TupleIJffEEEfNS_16tensor_operation12element_wise11PassThroughES6_NS5_14AddAddFastGeluELi1ELi256ELi256ELi128ELi32ELi8ELi8ELi16ELi16ELi8ELi2ENS_8SequenceIJLi4ELi64ELi1EEEENS8_IJLi1ELi0ELi2EEEESA_Li2ELi4ELi4ELb0ELi1ES9_SA_SA_Li2ELi4ELi4ELb0ELi1ELi1ELi1ENS8_IJLi1ELi32ELi1ELi8EEEELi2ELNS_13LoopSchedulerE0ELNS_15PipelineVersionE0EfLb0EEEffNS2_IJPKfSG_EEEfS6_S6_S7_NS_16TensorDescriptorINS2_IJNS_5EmbedINS2_IJiiEEENS2_IJiNS_17integral_constantIiLi1EEEEEELb0EEENS_11PassThroughIiEESQ_NS_7UnMergeINS2_IJiNSL_IiLi8EEEEEELb0EEESQ_EEENS2_IJNS8_IJLi0EEEENS8_IJLi1EEEENS8_IJLi2EEEENS8_IJLi4EEEENS8_IJLi3EEEEEEENS2_IJNS8_IJLi1ELi2EEEES10_SZ_NS8_IJLi5ELi6EEEENS8_IJLi7EEEEEEENS8_IJLi5ELi7ELi6EEEElEES17_NS2_IJNSI_INS2_IJSO_SQ_SQ_NSR_INS2_IJiNSL_IiLi256EEEEEELb0EEENSR_INS2_IJiNSL_IiLi128EEEEEELb0EEEEEENS2_IJSW_SX_SY_S10_SZ_EEENS2_IJS12_S10_SZ_S13_NS8_IJLi7ELi8EEEEEEENS8_IJLi5ELi6ELi7ELi8EEEElEES1J_EEES1J_NS_31BlockToCTileMap_M00_N0_M01AdaptILi256ELi128ENSI_INS2_IJSO_SQ_SQ_EEENS2_IJSW_SX_SY_EEENS2_IJS12_S10_SZ_EEENS8_IJLi3ELi4EEEElEEiEELb0EEEvPKT0_PKT1_T2_PT3_T4_T5_T6_T7_T8_T9_T10_T11_
                                        ; -- End function
	.set _ZN2ck35kernel_gemm_multiple_d_xdl_cshuffleINS_34GridwiseGemmMultipleD_xdl_cshuffleIfffffNS_5TupleIJffEEEfNS_16tensor_operation12element_wise11PassThroughES6_NS5_14AddAddFastGeluELi1ELi256ELi256ELi128ELi32ELi8ELi8ELi16ELi16ELi8ELi2ENS_8SequenceIJLi4ELi64ELi1EEEENS8_IJLi1ELi0ELi2EEEESA_Li2ELi4ELi4ELb0ELi1ES9_SA_SA_Li2ELi4ELi4ELb0ELi1ELi1ELi1ENS8_IJLi1ELi32ELi1ELi8EEEELi2ELNS_13LoopSchedulerE0ELNS_15PipelineVersionE0EfLb0EEEffNS2_IJPKfSG_EEEfS6_S6_S7_NS_16TensorDescriptorINS2_IJNS_5EmbedINS2_IJiiEEENS2_IJiNS_17integral_constantIiLi1EEEEEELb0EEENS_11PassThroughIiEESQ_NS_7UnMergeINS2_IJiNSL_IiLi8EEEEEELb0EEESQ_EEENS2_IJNS8_IJLi0EEEENS8_IJLi1EEEENS8_IJLi2EEEENS8_IJLi4EEEENS8_IJLi3EEEEEEENS2_IJNS8_IJLi1ELi2EEEES10_SZ_NS8_IJLi5ELi6EEEENS8_IJLi7EEEEEEENS8_IJLi5ELi7ELi6EEEElEES17_NS2_IJNSI_INS2_IJSO_SQ_SQ_NSR_INS2_IJiNSL_IiLi256EEEEEELb0EEENSR_INS2_IJiNSL_IiLi128EEEEEELb0EEEEEENS2_IJSW_SX_SY_S10_SZ_EEENS2_IJS12_S10_SZ_S13_NS8_IJLi7ELi8EEEEEEENS8_IJLi5ELi6ELi7ELi8EEEElEES1J_EEES1J_NS_31BlockToCTileMap_M00_N0_M01AdaptILi256ELi128ENSI_INS2_IJSO_SQ_SQ_EEENS2_IJSW_SX_SY_EEENS2_IJS12_S10_SZ_EEENS8_IJLi3ELi4EEEElEEiEELb0EEEvPKT0_PKT1_T2_PT3_T4_T5_T6_T7_T8_T9_T10_T11_.num_vgpr, 0
	.set _ZN2ck35kernel_gemm_multiple_d_xdl_cshuffleINS_34GridwiseGemmMultipleD_xdl_cshuffleIfffffNS_5TupleIJffEEEfNS_16tensor_operation12element_wise11PassThroughES6_NS5_14AddAddFastGeluELi1ELi256ELi256ELi128ELi32ELi8ELi8ELi16ELi16ELi8ELi2ENS_8SequenceIJLi4ELi64ELi1EEEENS8_IJLi1ELi0ELi2EEEESA_Li2ELi4ELi4ELb0ELi1ES9_SA_SA_Li2ELi4ELi4ELb0ELi1ELi1ELi1ENS8_IJLi1ELi32ELi1ELi8EEEELi2ELNS_13LoopSchedulerE0ELNS_15PipelineVersionE0EfLb0EEEffNS2_IJPKfSG_EEEfS6_S6_S7_NS_16TensorDescriptorINS2_IJNS_5EmbedINS2_IJiiEEENS2_IJiNS_17integral_constantIiLi1EEEEEELb0EEENS_11PassThroughIiEESQ_NS_7UnMergeINS2_IJiNSL_IiLi8EEEEEELb0EEESQ_EEENS2_IJNS8_IJLi0EEEENS8_IJLi1EEEENS8_IJLi2EEEENS8_IJLi4EEEENS8_IJLi3EEEEEEENS2_IJNS8_IJLi1ELi2EEEES10_SZ_NS8_IJLi5ELi6EEEENS8_IJLi7EEEEEEENS8_IJLi5ELi7ELi6EEEElEES17_NS2_IJNSI_INS2_IJSO_SQ_SQ_NSR_INS2_IJiNSL_IiLi256EEEEEELb0EEENSR_INS2_IJiNSL_IiLi128EEEEEELb0EEEEEENS2_IJSW_SX_SY_S10_SZ_EEENS2_IJS12_S10_SZ_S13_NS8_IJLi7ELi8EEEEEEENS8_IJLi5ELi6ELi7ELi8EEEElEES1J_EEES1J_NS_31BlockToCTileMap_M00_N0_M01AdaptILi256ELi128ENSI_INS2_IJSO_SQ_SQ_EEENS2_IJSW_SX_SY_EEENS2_IJS12_S10_SZ_EEENS8_IJLi3ELi4EEEElEEiEELb0EEEvPKT0_PKT1_T2_PT3_T4_T5_T6_T7_T8_T9_T10_T11_.num_agpr, 0
	.set _ZN2ck35kernel_gemm_multiple_d_xdl_cshuffleINS_34GridwiseGemmMultipleD_xdl_cshuffleIfffffNS_5TupleIJffEEEfNS_16tensor_operation12element_wise11PassThroughES6_NS5_14AddAddFastGeluELi1ELi256ELi256ELi128ELi32ELi8ELi8ELi16ELi16ELi8ELi2ENS_8SequenceIJLi4ELi64ELi1EEEENS8_IJLi1ELi0ELi2EEEESA_Li2ELi4ELi4ELb0ELi1ES9_SA_SA_Li2ELi4ELi4ELb0ELi1ELi1ELi1ENS8_IJLi1ELi32ELi1ELi8EEEELi2ELNS_13LoopSchedulerE0ELNS_15PipelineVersionE0EfLb0EEEffNS2_IJPKfSG_EEEfS6_S6_S7_NS_16TensorDescriptorINS2_IJNS_5EmbedINS2_IJiiEEENS2_IJiNS_17integral_constantIiLi1EEEEEELb0EEENS_11PassThroughIiEESQ_NS_7UnMergeINS2_IJiNSL_IiLi8EEEEEELb0EEESQ_EEENS2_IJNS8_IJLi0EEEENS8_IJLi1EEEENS8_IJLi2EEEENS8_IJLi4EEEENS8_IJLi3EEEEEEENS2_IJNS8_IJLi1ELi2EEEES10_SZ_NS8_IJLi5ELi6EEEENS8_IJLi7EEEEEEENS8_IJLi5ELi7ELi6EEEElEES17_NS2_IJNSI_INS2_IJSO_SQ_SQ_NSR_INS2_IJiNSL_IiLi256EEEEEELb0EEENSR_INS2_IJiNSL_IiLi128EEEEEELb0EEEEEENS2_IJSW_SX_SY_S10_SZ_EEENS2_IJS12_S10_SZ_S13_NS8_IJLi7ELi8EEEEEEENS8_IJLi5ELi6ELi7ELi8EEEElEES1J_EEES1J_NS_31BlockToCTileMap_M00_N0_M01AdaptILi256ELi128ENSI_INS2_IJSO_SQ_SQ_EEENS2_IJSW_SX_SY_EEENS2_IJS12_S10_SZ_EEENS8_IJLi3ELi4EEEElEEiEELb0EEEvPKT0_PKT1_T2_PT3_T4_T5_T6_T7_T8_T9_T10_T11_.numbered_sgpr, 0
	.set _ZN2ck35kernel_gemm_multiple_d_xdl_cshuffleINS_34GridwiseGemmMultipleD_xdl_cshuffleIfffffNS_5TupleIJffEEEfNS_16tensor_operation12element_wise11PassThroughES6_NS5_14AddAddFastGeluELi1ELi256ELi256ELi128ELi32ELi8ELi8ELi16ELi16ELi8ELi2ENS_8SequenceIJLi4ELi64ELi1EEEENS8_IJLi1ELi0ELi2EEEESA_Li2ELi4ELi4ELb0ELi1ES9_SA_SA_Li2ELi4ELi4ELb0ELi1ELi1ELi1ENS8_IJLi1ELi32ELi1ELi8EEEELi2ELNS_13LoopSchedulerE0ELNS_15PipelineVersionE0EfLb0EEEffNS2_IJPKfSG_EEEfS6_S6_S7_NS_16TensorDescriptorINS2_IJNS_5EmbedINS2_IJiiEEENS2_IJiNS_17integral_constantIiLi1EEEEEELb0EEENS_11PassThroughIiEESQ_NS_7UnMergeINS2_IJiNSL_IiLi8EEEEEELb0EEESQ_EEENS2_IJNS8_IJLi0EEEENS8_IJLi1EEEENS8_IJLi2EEEENS8_IJLi4EEEENS8_IJLi3EEEEEEENS2_IJNS8_IJLi1ELi2EEEES10_SZ_NS8_IJLi5ELi6EEEENS8_IJLi7EEEEEEENS8_IJLi5ELi7ELi6EEEElEES17_NS2_IJNSI_INS2_IJSO_SQ_SQ_NSR_INS2_IJiNSL_IiLi256EEEEEELb0EEENSR_INS2_IJiNSL_IiLi128EEEEEELb0EEEEEENS2_IJSW_SX_SY_S10_SZ_EEENS2_IJS12_S10_SZ_S13_NS8_IJLi7ELi8EEEEEEENS8_IJLi5ELi6ELi7ELi8EEEElEES1J_EEES1J_NS_31BlockToCTileMap_M00_N0_M01AdaptILi256ELi128ENSI_INS2_IJSO_SQ_SQ_EEENS2_IJSW_SX_SY_EEENS2_IJS12_S10_SZ_EEENS8_IJLi3ELi4EEEElEEiEELb0EEEvPKT0_PKT1_T2_PT3_T4_T5_T6_T7_T8_T9_T10_T11_.num_named_barrier, 0
	.set _ZN2ck35kernel_gemm_multiple_d_xdl_cshuffleINS_34GridwiseGemmMultipleD_xdl_cshuffleIfffffNS_5TupleIJffEEEfNS_16tensor_operation12element_wise11PassThroughES6_NS5_14AddAddFastGeluELi1ELi256ELi256ELi128ELi32ELi8ELi8ELi16ELi16ELi8ELi2ENS_8SequenceIJLi4ELi64ELi1EEEENS8_IJLi1ELi0ELi2EEEESA_Li2ELi4ELi4ELb0ELi1ES9_SA_SA_Li2ELi4ELi4ELb0ELi1ELi1ELi1ENS8_IJLi1ELi32ELi1ELi8EEEELi2ELNS_13LoopSchedulerE0ELNS_15PipelineVersionE0EfLb0EEEffNS2_IJPKfSG_EEEfS6_S6_S7_NS_16TensorDescriptorINS2_IJNS_5EmbedINS2_IJiiEEENS2_IJiNS_17integral_constantIiLi1EEEEEELb0EEENS_11PassThroughIiEESQ_NS_7UnMergeINS2_IJiNSL_IiLi8EEEEEELb0EEESQ_EEENS2_IJNS8_IJLi0EEEENS8_IJLi1EEEENS8_IJLi2EEEENS8_IJLi4EEEENS8_IJLi3EEEEEEENS2_IJNS8_IJLi1ELi2EEEES10_SZ_NS8_IJLi5ELi6EEEENS8_IJLi7EEEEEEENS8_IJLi5ELi7ELi6EEEElEES17_NS2_IJNSI_INS2_IJSO_SQ_SQ_NSR_INS2_IJiNSL_IiLi256EEEEEELb0EEENSR_INS2_IJiNSL_IiLi128EEEEEELb0EEEEEENS2_IJSW_SX_SY_S10_SZ_EEENS2_IJS12_S10_SZ_S13_NS8_IJLi7ELi8EEEEEEENS8_IJLi5ELi6ELi7ELi8EEEElEES1J_EEES1J_NS_31BlockToCTileMap_M00_N0_M01AdaptILi256ELi128ENSI_INS2_IJSO_SQ_SQ_EEENS2_IJSW_SX_SY_EEENS2_IJS12_S10_SZ_EEENS8_IJLi3ELi4EEEElEEiEELb0EEEvPKT0_PKT1_T2_PT3_T4_T5_T6_T7_T8_T9_T10_T11_.private_seg_size, 0
	.set _ZN2ck35kernel_gemm_multiple_d_xdl_cshuffleINS_34GridwiseGemmMultipleD_xdl_cshuffleIfffffNS_5TupleIJffEEEfNS_16tensor_operation12element_wise11PassThroughES6_NS5_14AddAddFastGeluELi1ELi256ELi256ELi128ELi32ELi8ELi8ELi16ELi16ELi8ELi2ENS_8SequenceIJLi4ELi64ELi1EEEENS8_IJLi1ELi0ELi2EEEESA_Li2ELi4ELi4ELb0ELi1ES9_SA_SA_Li2ELi4ELi4ELb0ELi1ELi1ELi1ENS8_IJLi1ELi32ELi1ELi8EEEELi2ELNS_13LoopSchedulerE0ELNS_15PipelineVersionE0EfLb0EEEffNS2_IJPKfSG_EEEfS6_S6_S7_NS_16TensorDescriptorINS2_IJNS_5EmbedINS2_IJiiEEENS2_IJiNS_17integral_constantIiLi1EEEEEELb0EEENS_11PassThroughIiEESQ_NS_7UnMergeINS2_IJiNSL_IiLi8EEEEEELb0EEESQ_EEENS2_IJNS8_IJLi0EEEENS8_IJLi1EEEENS8_IJLi2EEEENS8_IJLi4EEEENS8_IJLi3EEEEEEENS2_IJNS8_IJLi1ELi2EEEES10_SZ_NS8_IJLi5ELi6EEEENS8_IJLi7EEEEEEENS8_IJLi5ELi7ELi6EEEElEES17_NS2_IJNSI_INS2_IJSO_SQ_SQ_NSR_INS2_IJiNSL_IiLi256EEEEEELb0EEENSR_INS2_IJiNSL_IiLi128EEEEEELb0EEEEEENS2_IJSW_SX_SY_S10_SZ_EEENS2_IJS12_S10_SZ_S13_NS8_IJLi7ELi8EEEEEEENS8_IJLi5ELi6ELi7ELi8EEEElEES1J_EEES1J_NS_31BlockToCTileMap_M00_N0_M01AdaptILi256ELi128ENSI_INS2_IJSO_SQ_SQ_EEENS2_IJSW_SX_SY_EEENS2_IJS12_S10_SZ_EEENS8_IJLi3ELi4EEEElEEiEELb0EEEvPKT0_PKT1_T2_PT3_T4_T5_T6_T7_T8_T9_T10_T11_.uses_vcc, 0
	.set _ZN2ck35kernel_gemm_multiple_d_xdl_cshuffleINS_34GridwiseGemmMultipleD_xdl_cshuffleIfffffNS_5TupleIJffEEEfNS_16tensor_operation12element_wise11PassThroughES6_NS5_14AddAddFastGeluELi1ELi256ELi256ELi128ELi32ELi8ELi8ELi16ELi16ELi8ELi2ENS_8SequenceIJLi4ELi64ELi1EEEENS8_IJLi1ELi0ELi2EEEESA_Li2ELi4ELi4ELb0ELi1ES9_SA_SA_Li2ELi4ELi4ELb0ELi1ELi1ELi1ENS8_IJLi1ELi32ELi1ELi8EEEELi2ELNS_13LoopSchedulerE0ELNS_15PipelineVersionE0EfLb0EEEffNS2_IJPKfSG_EEEfS6_S6_S7_NS_16TensorDescriptorINS2_IJNS_5EmbedINS2_IJiiEEENS2_IJiNS_17integral_constantIiLi1EEEEEELb0EEENS_11PassThroughIiEESQ_NS_7UnMergeINS2_IJiNSL_IiLi8EEEEEELb0EEESQ_EEENS2_IJNS8_IJLi0EEEENS8_IJLi1EEEENS8_IJLi2EEEENS8_IJLi4EEEENS8_IJLi3EEEEEEENS2_IJNS8_IJLi1ELi2EEEES10_SZ_NS8_IJLi5ELi6EEEENS8_IJLi7EEEEEEENS8_IJLi5ELi7ELi6EEEElEES17_NS2_IJNSI_INS2_IJSO_SQ_SQ_NSR_INS2_IJiNSL_IiLi256EEEEEELb0EEENSR_INS2_IJiNSL_IiLi128EEEEEELb0EEEEEENS2_IJSW_SX_SY_S10_SZ_EEENS2_IJS12_S10_SZ_S13_NS8_IJLi7ELi8EEEEEEENS8_IJLi5ELi6ELi7ELi8EEEElEES1J_EEES1J_NS_31BlockToCTileMap_M00_N0_M01AdaptILi256ELi128ENSI_INS2_IJSO_SQ_SQ_EEENS2_IJSW_SX_SY_EEENS2_IJS12_S10_SZ_EEENS8_IJLi3ELi4EEEElEEiEELb0EEEvPKT0_PKT1_T2_PT3_T4_T5_T6_T7_T8_T9_T10_T11_.uses_flat_scratch, 0
	.set _ZN2ck35kernel_gemm_multiple_d_xdl_cshuffleINS_34GridwiseGemmMultipleD_xdl_cshuffleIfffffNS_5TupleIJffEEEfNS_16tensor_operation12element_wise11PassThroughES6_NS5_14AddAddFastGeluELi1ELi256ELi256ELi128ELi32ELi8ELi8ELi16ELi16ELi8ELi2ENS_8SequenceIJLi4ELi64ELi1EEEENS8_IJLi1ELi0ELi2EEEESA_Li2ELi4ELi4ELb0ELi1ES9_SA_SA_Li2ELi4ELi4ELb0ELi1ELi1ELi1ENS8_IJLi1ELi32ELi1ELi8EEEELi2ELNS_13LoopSchedulerE0ELNS_15PipelineVersionE0EfLb0EEEffNS2_IJPKfSG_EEEfS6_S6_S7_NS_16TensorDescriptorINS2_IJNS_5EmbedINS2_IJiiEEENS2_IJiNS_17integral_constantIiLi1EEEEEELb0EEENS_11PassThroughIiEESQ_NS_7UnMergeINS2_IJiNSL_IiLi8EEEEEELb0EEESQ_EEENS2_IJNS8_IJLi0EEEENS8_IJLi1EEEENS8_IJLi2EEEENS8_IJLi4EEEENS8_IJLi3EEEEEEENS2_IJNS8_IJLi1ELi2EEEES10_SZ_NS8_IJLi5ELi6EEEENS8_IJLi7EEEEEEENS8_IJLi5ELi7ELi6EEEElEES17_NS2_IJNSI_INS2_IJSO_SQ_SQ_NSR_INS2_IJiNSL_IiLi256EEEEEELb0EEENSR_INS2_IJiNSL_IiLi128EEEEEELb0EEEEEENS2_IJSW_SX_SY_S10_SZ_EEENS2_IJS12_S10_SZ_S13_NS8_IJLi7ELi8EEEEEEENS8_IJLi5ELi6ELi7ELi8EEEElEES1J_EEES1J_NS_31BlockToCTileMap_M00_N0_M01AdaptILi256ELi128ENSI_INS2_IJSO_SQ_SQ_EEENS2_IJSW_SX_SY_EEENS2_IJS12_S10_SZ_EEENS8_IJLi3ELi4EEEElEEiEELb0EEEvPKT0_PKT1_T2_PT3_T4_T5_T6_T7_T8_T9_T10_T11_.has_dyn_sized_stack, 0
	.set _ZN2ck35kernel_gemm_multiple_d_xdl_cshuffleINS_34GridwiseGemmMultipleD_xdl_cshuffleIfffffNS_5TupleIJffEEEfNS_16tensor_operation12element_wise11PassThroughES6_NS5_14AddAddFastGeluELi1ELi256ELi256ELi128ELi32ELi8ELi8ELi16ELi16ELi8ELi2ENS_8SequenceIJLi4ELi64ELi1EEEENS8_IJLi1ELi0ELi2EEEESA_Li2ELi4ELi4ELb0ELi1ES9_SA_SA_Li2ELi4ELi4ELb0ELi1ELi1ELi1ENS8_IJLi1ELi32ELi1ELi8EEEELi2ELNS_13LoopSchedulerE0ELNS_15PipelineVersionE0EfLb0EEEffNS2_IJPKfSG_EEEfS6_S6_S7_NS_16TensorDescriptorINS2_IJNS_5EmbedINS2_IJiiEEENS2_IJiNS_17integral_constantIiLi1EEEEEELb0EEENS_11PassThroughIiEESQ_NS_7UnMergeINS2_IJiNSL_IiLi8EEEEEELb0EEESQ_EEENS2_IJNS8_IJLi0EEEENS8_IJLi1EEEENS8_IJLi2EEEENS8_IJLi4EEEENS8_IJLi3EEEEEEENS2_IJNS8_IJLi1ELi2EEEES10_SZ_NS8_IJLi5ELi6EEEENS8_IJLi7EEEEEEENS8_IJLi5ELi7ELi6EEEElEES17_NS2_IJNSI_INS2_IJSO_SQ_SQ_NSR_INS2_IJiNSL_IiLi256EEEEEELb0EEENSR_INS2_IJiNSL_IiLi128EEEEEELb0EEEEEENS2_IJSW_SX_SY_S10_SZ_EEENS2_IJS12_S10_SZ_S13_NS8_IJLi7ELi8EEEEEEENS8_IJLi5ELi6ELi7ELi8EEEElEES1J_EEES1J_NS_31BlockToCTileMap_M00_N0_M01AdaptILi256ELi128ENSI_INS2_IJSO_SQ_SQ_EEENS2_IJSW_SX_SY_EEENS2_IJS12_S10_SZ_EEENS8_IJLi3ELi4EEEElEEiEELb0EEEvPKT0_PKT1_T2_PT3_T4_T5_T6_T7_T8_T9_T10_T11_.has_recursion, 0
	.set _ZN2ck35kernel_gemm_multiple_d_xdl_cshuffleINS_34GridwiseGemmMultipleD_xdl_cshuffleIfffffNS_5TupleIJffEEEfNS_16tensor_operation12element_wise11PassThroughES6_NS5_14AddAddFastGeluELi1ELi256ELi256ELi128ELi32ELi8ELi8ELi16ELi16ELi8ELi2ENS_8SequenceIJLi4ELi64ELi1EEEENS8_IJLi1ELi0ELi2EEEESA_Li2ELi4ELi4ELb0ELi1ES9_SA_SA_Li2ELi4ELi4ELb0ELi1ELi1ELi1ENS8_IJLi1ELi32ELi1ELi8EEEELi2ELNS_13LoopSchedulerE0ELNS_15PipelineVersionE0EfLb0EEEffNS2_IJPKfSG_EEEfS6_S6_S7_NS_16TensorDescriptorINS2_IJNS_5EmbedINS2_IJiiEEENS2_IJiNS_17integral_constantIiLi1EEEEEELb0EEENS_11PassThroughIiEESQ_NS_7UnMergeINS2_IJiNSL_IiLi8EEEEEELb0EEESQ_EEENS2_IJNS8_IJLi0EEEENS8_IJLi1EEEENS8_IJLi2EEEENS8_IJLi4EEEENS8_IJLi3EEEEEEENS2_IJNS8_IJLi1ELi2EEEES10_SZ_NS8_IJLi5ELi6EEEENS8_IJLi7EEEEEEENS8_IJLi5ELi7ELi6EEEElEES17_NS2_IJNSI_INS2_IJSO_SQ_SQ_NSR_INS2_IJiNSL_IiLi256EEEEEELb0EEENSR_INS2_IJiNSL_IiLi128EEEEEELb0EEEEEENS2_IJSW_SX_SY_S10_SZ_EEENS2_IJS12_S10_SZ_S13_NS8_IJLi7ELi8EEEEEEENS8_IJLi5ELi6ELi7ELi8EEEElEES1J_EEES1J_NS_31BlockToCTileMap_M00_N0_M01AdaptILi256ELi128ENSI_INS2_IJSO_SQ_SQ_EEENS2_IJSW_SX_SY_EEENS2_IJS12_S10_SZ_EEENS8_IJLi3ELi4EEEElEEiEELb0EEEvPKT0_PKT1_T2_PT3_T4_T5_T6_T7_T8_T9_T10_T11_.has_indirect_call, 0
	.section	.AMDGPU.csdata,"",@progbits
; Kernel info:
; codeLenInByte = 4
; TotalNumSgprs: 4
; NumVgprs: 0
; ScratchSize: 0
; MemoryBound: 0
; FloatMode: 240
; IeeeMode: 1
; LDSByteSize: 0 bytes/workgroup (compile time only)
; SGPRBlocks: 0
; VGPRBlocks: 0
; NumSGPRsForWavesPerEU: 4
; NumVGPRsForWavesPerEU: 1
; Occupancy: 10
; WaveLimiterHint : 0
; COMPUTE_PGM_RSRC2:SCRATCH_EN: 0
; COMPUTE_PGM_RSRC2:USER_SGPR: 6
; COMPUTE_PGM_RSRC2:TRAP_HANDLER: 0
; COMPUTE_PGM_RSRC2:TGID_X_EN: 1
; COMPUTE_PGM_RSRC2:TGID_Y_EN: 0
; COMPUTE_PGM_RSRC2:TGID_Z_EN: 0
; COMPUTE_PGM_RSRC2:TIDIG_COMP_CNT: 0
	.section	.AMDGPU.gpr_maximums,"",@progbits
	.set amdgpu.max_num_vgpr, 0
	.set amdgpu.max_num_agpr, 0
	.set amdgpu.max_num_sgpr, 0
	.section	.AMDGPU.csdata,"",@progbits
	.type	__hip_cuid_31223cf16a37a911,@object ; @__hip_cuid_31223cf16a37a911
	.section	.bss,"aw",@nobits
	.globl	__hip_cuid_31223cf16a37a911
__hip_cuid_31223cf16a37a911:
	.byte	0                               ; 0x0
	.size	__hip_cuid_31223cf16a37a911, 1

	.ident	"AMD clang version 22.0.0git (https://github.com/RadeonOpenCompute/llvm-project roc-7.2.4 26084 f58b06dce1f9c15707c5f808fd002e18c2accf7e)"
	.section	".note.GNU-stack","",@progbits
	.addrsig
	.addrsig_sym __hip_cuid_31223cf16a37a911
	.amdgpu_metadata
---
amdhsa.kernels:
  - .args:           []
    .group_segment_fixed_size: 0
    .kernarg_segment_align: 4
    .kernarg_segment_size: 0
    .language:       OpenCL C
    .language_version:
      - 2
      - 0
    .max_flat_workgroup_size: 1024
    .name:           _ZN2ckL12flush_icacheEv
    .private_segment_fixed_size: 0
    .sgpr_count:     4
    .sgpr_spill_count: 0
    .symbol:         _ZN2ckL12flush_icacheEv.kd
    .uniform_work_group_size: 1
    .uses_dynamic_stack: false
    .vgpr_count:     0
    .vgpr_spill_count: 0
    .wavefront_size: 64
  - .args:
      - .actual_access:  read_only
        .address_space:  global
        .offset:         0
        .size:           8
        .value_kind:     global_buffer
      - .actual_access:  read_only
        .address_space:  global
        .offset:         8
        .size:           8
        .value_kind:     global_buffer
      - .offset:         16
        .size:           16
        .value_kind:     by_value
      - .actual_access:  read_only
        .address_space:  global
        .offset:         32
        .size:           8
        .value_kind:     global_buffer
      - .offset:         40
        .size:           1
        .value_kind:     by_value
      - .offset:         41
        .size:           1
        .value_kind:     by_value
      - .offset:         42
        .size:           1
        .value_kind:     by_value
      - .offset:         48
        .size:           56
        .value_kind:     by_value
      - .offset:         104
        .size:           56
        .value_kind:     by_value
      - .offset:         160
        .size:           128
        .value_kind:     by_value
      - .offset:         288
        .size:           64
        .value_kind:     by_value
      - .offset:         352
        .size:           12
        .value_kind:     by_value
    .group_segment_fixed_size: 0
    .kernarg_segment_align: 8
    .kernarg_segment_size: 364
    .language:       OpenCL C
    .language_version:
      - 2
      - 0
    .max_flat_workgroup_size: 256
    .name:           _ZN2ck35kernel_gemm_multiple_d_xdl_cshuffleINS_34GridwiseGemmMultipleD_xdl_cshuffleIfffffNS_5TupleIJffEEEfNS_16tensor_operation12element_wise11PassThroughES6_NS5_14AddAddFastGeluELi1ELi256ELi256ELi128ELi32ELi8ELi8ELi16ELi16ELi8ELi4ENS_8SequenceIJLi4ELi64ELi1EEEENS8_IJLi1ELi0ELi2EEEESA_Li2ELi4ELi4ELb0ELi1ES9_SA_SA_Li2ELi4ELi4ELb0ELi1ELi1ELi1ENS8_IJLi1ELi32ELi1ELi8EEEELi2ELNS_13LoopSchedulerE0ELNS_15PipelineVersionE0EfLb0EEEffNS2_IJPKfSG_EEEfS6_S6_S7_NS_16TensorDescriptorINS2_IJNS_5EmbedINS2_IJiiEEENS2_IJiNS_17integral_constantIiLi1EEEEEELb0EEENS_11PassThroughIiEESQ_NS_7UnMergeINS2_IJiNSL_IiLi8EEEEEELb0EEESQ_EEENS2_IJNS8_IJLi0EEEENS8_IJLi1EEEENS8_IJLi2EEEENS8_IJLi4EEEENS8_IJLi3EEEEEEENS2_IJNS8_IJLi1ELi2EEEES10_SZ_NS8_IJLi5ELi6EEEENS8_IJLi7EEEEEEENS8_IJLi5ELi7ELi6EEEElEES17_NS2_IJNSI_INS2_IJSO_SQ_SQ_NSR_INS2_IJiNSL_IiLi256EEEEEELb0EEENSR_INS2_IJiNSL_IiLi128EEEEEELb0EEEEEENS2_IJSW_SX_SY_S10_SZ_EEENS2_IJS12_S10_SZ_S13_NS8_IJLi7ELi8EEEEEEENS8_IJLi5ELi6ELi7ELi8EEEElEES1J_EEES1J_NS_31BlockToCTileMap_M00_N0_M01AdaptILi256ELi128ENSI_INS2_IJSO_SQ_SQ_EEENS2_IJSW_SX_SY_EEENS2_IJS12_S10_SZ_EEENS8_IJLi3ELi4EEEElEEiEELb1EEEvPKT0_PKT1_T2_PT3_T4_T5_T6_T7_T8_T9_T10_T11_
    .private_segment_fixed_size: 0
    .sgpr_count:     4
    .sgpr_spill_count: 0
    .symbol:         _ZN2ck35kernel_gemm_multiple_d_xdl_cshuffleINS_34GridwiseGemmMultipleD_xdl_cshuffleIfffffNS_5TupleIJffEEEfNS_16tensor_operation12element_wise11PassThroughES6_NS5_14AddAddFastGeluELi1ELi256ELi256ELi128ELi32ELi8ELi8ELi16ELi16ELi8ELi4ENS_8SequenceIJLi4ELi64ELi1EEEENS8_IJLi1ELi0ELi2EEEESA_Li2ELi4ELi4ELb0ELi1ES9_SA_SA_Li2ELi4ELi4ELb0ELi1ELi1ELi1ENS8_IJLi1ELi32ELi1ELi8EEEELi2ELNS_13LoopSchedulerE0ELNS_15PipelineVersionE0EfLb0EEEffNS2_IJPKfSG_EEEfS6_S6_S7_NS_16TensorDescriptorINS2_IJNS_5EmbedINS2_IJiiEEENS2_IJiNS_17integral_constantIiLi1EEEEEELb0EEENS_11PassThroughIiEESQ_NS_7UnMergeINS2_IJiNSL_IiLi8EEEEEELb0EEESQ_EEENS2_IJNS8_IJLi0EEEENS8_IJLi1EEEENS8_IJLi2EEEENS8_IJLi4EEEENS8_IJLi3EEEEEEENS2_IJNS8_IJLi1ELi2EEEES10_SZ_NS8_IJLi5ELi6EEEENS8_IJLi7EEEEEEENS8_IJLi5ELi7ELi6EEEElEES17_NS2_IJNSI_INS2_IJSO_SQ_SQ_NSR_INS2_IJiNSL_IiLi256EEEEEELb0EEENSR_INS2_IJiNSL_IiLi128EEEEEELb0EEEEEENS2_IJSW_SX_SY_S10_SZ_EEENS2_IJS12_S10_SZ_S13_NS8_IJLi7ELi8EEEEEEENS8_IJLi5ELi6ELi7ELi8EEEElEES1J_EEES1J_NS_31BlockToCTileMap_M00_N0_M01AdaptILi256ELi128ENSI_INS2_IJSO_SQ_SQ_EEENS2_IJSW_SX_SY_EEENS2_IJS12_S10_SZ_EEENS8_IJLi3ELi4EEEElEEiEELb1EEEvPKT0_PKT1_T2_PT3_T4_T5_T6_T7_T8_T9_T10_T11_.kd
    .uniform_work_group_size: 1
    .uses_dynamic_stack: false
    .vgpr_count:     0
    .vgpr_spill_count: 0
    .wavefront_size: 64
  - .args:
      - .actual_access:  read_only
        .address_space:  global
        .offset:         0
        .size:           8
        .value_kind:     global_buffer
      - .actual_access:  read_only
        .address_space:  global
        .offset:         8
        .size:           8
        .value_kind:     global_buffer
      - .offset:         16
        .size:           16
        .value_kind:     by_value
      - .actual_access:  read_only
        .address_space:  global
        .offset:         32
        .size:           8
        .value_kind:     global_buffer
      - .offset:         40
        .size:           1
        .value_kind:     by_value
      - .offset:         41
        .size:           1
        .value_kind:     by_value
      - .offset:         42
        .size:           1
        .value_kind:     by_value
      - .offset:         48
        .size:           56
        .value_kind:     by_value
      - .offset:         104
        .size:           56
        .value_kind:     by_value
      - .offset:         160
        .size:           128
        .value_kind:     by_value
      - .offset:         288
        .size:           64
        .value_kind:     by_value
      - .offset:         352
        .size:           12
        .value_kind:     by_value
    .group_segment_fixed_size: 0
    .kernarg_segment_align: 8
    .kernarg_segment_size: 364
    .language:       OpenCL C
    .language_version:
      - 2
      - 0
    .max_flat_workgroup_size: 256
    .name:           _ZN2ck35kernel_gemm_multiple_d_xdl_cshuffleINS_34GridwiseGemmMultipleD_xdl_cshuffleIfffffNS_5TupleIJffEEEfNS_16tensor_operation12element_wise11PassThroughES6_NS5_14AddAddFastGeluELi1ELi256ELi256ELi128ELi32ELi8ELi8ELi16ELi16ELi8ELi4ENS_8SequenceIJLi4ELi64ELi1EEEENS8_IJLi1ELi0ELi2EEEESA_Li2ELi4ELi4ELb0ELi1ES9_SA_SA_Li2ELi4ELi4ELb0ELi1ELi1ELi1ENS8_IJLi1ELi32ELi1ELi8EEEELi2ELNS_13LoopSchedulerE0ELNS_15PipelineVersionE0EfLb0EEEffNS2_IJPKfSG_EEEfS6_S6_S7_NS_16TensorDescriptorINS2_IJNS_5EmbedINS2_IJiiEEENS2_IJiNS_17integral_constantIiLi1EEEEEELb0EEENS_11PassThroughIiEESQ_NS_7UnMergeINS2_IJiNSL_IiLi8EEEEEELb0EEESQ_EEENS2_IJNS8_IJLi0EEEENS8_IJLi1EEEENS8_IJLi2EEEENS8_IJLi4EEEENS8_IJLi3EEEEEEENS2_IJNS8_IJLi1ELi2EEEES10_SZ_NS8_IJLi5ELi6EEEENS8_IJLi7EEEEEEENS8_IJLi5ELi7ELi6EEEElEES17_NS2_IJNSI_INS2_IJSO_SQ_SQ_NSR_INS2_IJiNSL_IiLi256EEEEEELb0EEENSR_INS2_IJiNSL_IiLi128EEEEEELb0EEEEEENS2_IJSW_SX_SY_S10_SZ_EEENS2_IJS12_S10_SZ_S13_NS8_IJLi7ELi8EEEEEEENS8_IJLi5ELi6ELi7ELi8EEEElEES1J_EEES1J_NS_31BlockToCTileMap_M00_N0_M01AdaptILi256ELi128ENSI_INS2_IJSO_SQ_SQ_EEENS2_IJSW_SX_SY_EEENS2_IJS12_S10_SZ_EEENS8_IJLi3ELi4EEEElEEiEELb0EEEvPKT0_PKT1_T2_PT3_T4_T5_T6_T7_T8_T9_T10_T11_
    .private_segment_fixed_size: 0
    .sgpr_count:     4
    .sgpr_spill_count: 0
    .symbol:         _ZN2ck35kernel_gemm_multiple_d_xdl_cshuffleINS_34GridwiseGemmMultipleD_xdl_cshuffleIfffffNS_5TupleIJffEEEfNS_16tensor_operation12element_wise11PassThroughES6_NS5_14AddAddFastGeluELi1ELi256ELi256ELi128ELi32ELi8ELi8ELi16ELi16ELi8ELi4ENS_8SequenceIJLi4ELi64ELi1EEEENS8_IJLi1ELi0ELi2EEEESA_Li2ELi4ELi4ELb0ELi1ES9_SA_SA_Li2ELi4ELi4ELb0ELi1ELi1ELi1ENS8_IJLi1ELi32ELi1ELi8EEEELi2ELNS_13LoopSchedulerE0ELNS_15PipelineVersionE0EfLb0EEEffNS2_IJPKfSG_EEEfS6_S6_S7_NS_16TensorDescriptorINS2_IJNS_5EmbedINS2_IJiiEEENS2_IJiNS_17integral_constantIiLi1EEEEEELb0EEENS_11PassThroughIiEESQ_NS_7UnMergeINS2_IJiNSL_IiLi8EEEEEELb0EEESQ_EEENS2_IJNS8_IJLi0EEEENS8_IJLi1EEEENS8_IJLi2EEEENS8_IJLi4EEEENS8_IJLi3EEEEEEENS2_IJNS8_IJLi1ELi2EEEES10_SZ_NS8_IJLi5ELi6EEEENS8_IJLi7EEEEEEENS8_IJLi5ELi7ELi6EEEElEES17_NS2_IJNSI_INS2_IJSO_SQ_SQ_NSR_INS2_IJiNSL_IiLi256EEEEEELb0EEENSR_INS2_IJiNSL_IiLi128EEEEEELb0EEEEEENS2_IJSW_SX_SY_S10_SZ_EEENS2_IJS12_S10_SZ_S13_NS8_IJLi7ELi8EEEEEEENS8_IJLi5ELi6ELi7ELi8EEEElEES1J_EEES1J_NS_31BlockToCTileMap_M00_N0_M01AdaptILi256ELi128ENSI_INS2_IJSO_SQ_SQ_EEENS2_IJSW_SX_SY_EEENS2_IJS12_S10_SZ_EEENS8_IJLi3ELi4EEEElEEiEELb0EEEvPKT0_PKT1_T2_PT3_T4_T5_T6_T7_T8_T9_T10_T11_.kd
    .uniform_work_group_size: 1
    .uses_dynamic_stack: false
    .vgpr_count:     0
    .vgpr_spill_count: 0
    .wavefront_size: 64
  - .args:
      - .actual_access:  read_only
        .address_space:  global
        .offset:         0
        .size:           8
        .value_kind:     global_buffer
      - .actual_access:  read_only
        .address_space:  global
        .offset:         8
        .size:           8
        .value_kind:     global_buffer
      - .offset:         16
        .size:           16
        .value_kind:     by_value
      - .actual_access:  read_only
        .address_space:  global
        .offset:         32
        .size:           8
        .value_kind:     global_buffer
      - .offset:         40
        .size:           1
        .value_kind:     by_value
      - .offset:         41
        .size:           1
        .value_kind:     by_value
      - .offset:         42
        .size:           1
        .value_kind:     by_value
      - .offset:         48
        .size:           56
        .value_kind:     by_value
      - .offset:         104
        .size:           56
        .value_kind:     by_value
      - .offset:         160
        .size:           128
        .value_kind:     by_value
      - .offset:         288
        .size:           64
        .value_kind:     by_value
      - .offset:         352
        .size:           12
        .value_kind:     by_value
    .group_segment_fixed_size: 0
    .kernarg_segment_align: 8
    .kernarg_segment_size: 364
    .language:       OpenCL C
    .language_version:
      - 2
      - 0
    .max_flat_workgroup_size: 256
    .name:           _ZN2ck35kernel_gemm_multiple_d_xdl_cshuffleINS_34GridwiseGemmMultipleD_xdl_cshuffleIfffffNS_5TupleIJffEEEfNS_16tensor_operation12element_wise11PassThroughES6_NS5_14AddAddFastGeluELi1ELi256ELi256ELi128ELi32ELi8ELi8ELi16ELi16ELi8ELi2ENS_8SequenceIJLi4ELi64ELi1EEEENS8_IJLi1ELi0ELi2EEEESA_Li2ELi4ELi4ELb0ELi1ES9_SA_SA_Li2ELi4ELi4ELb0ELi1ELi1ELi1ENS8_IJLi1ELi32ELi1ELi8EEEELi2ELNS_13LoopSchedulerE0ELNS_15PipelineVersionE0EfLb0EEEffNS2_IJPKfSG_EEEfS6_S6_S7_NS_16TensorDescriptorINS2_IJNS_5EmbedINS2_IJiiEEENS2_IJiNS_17integral_constantIiLi1EEEEEELb0EEENS_11PassThroughIiEESQ_NS_7UnMergeINS2_IJiNSL_IiLi8EEEEEELb0EEESQ_EEENS2_IJNS8_IJLi0EEEENS8_IJLi1EEEENS8_IJLi2EEEENS8_IJLi4EEEENS8_IJLi3EEEEEEENS2_IJNS8_IJLi1ELi2EEEES10_SZ_NS8_IJLi5ELi6EEEENS8_IJLi7EEEEEEENS8_IJLi5ELi7ELi6EEEElEES17_NS2_IJNSI_INS2_IJSO_SQ_SQ_NSR_INS2_IJiNSL_IiLi256EEEEEELb0EEENSR_INS2_IJiNSL_IiLi128EEEEEELb0EEEEEENS2_IJSW_SX_SY_S10_SZ_EEENS2_IJS12_S10_SZ_S13_NS8_IJLi7ELi8EEEEEEENS8_IJLi5ELi6ELi7ELi8EEEElEES1J_EEES1J_NS_31BlockToCTileMap_M00_N0_M01AdaptILi256ELi128ENSI_INS2_IJSO_SQ_SQ_EEENS2_IJSW_SX_SY_EEENS2_IJS12_S10_SZ_EEENS8_IJLi3ELi4EEEElEEiEELb1EEEvPKT0_PKT1_T2_PT3_T4_T5_T6_T7_T8_T9_T10_T11_
    .private_segment_fixed_size: 0
    .sgpr_count:     4
    .sgpr_spill_count: 0
    .symbol:         _ZN2ck35kernel_gemm_multiple_d_xdl_cshuffleINS_34GridwiseGemmMultipleD_xdl_cshuffleIfffffNS_5TupleIJffEEEfNS_16tensor_operation12element_wise11PassThroughES6_NS5_14AddAddFastGeluELi1ELi256ELi256ELi128ELi32ELi8ELi8ELi16ELi16ELi8ELi2ENS_8SequenceIJLi4ELi64ELi1EEEENS8_IJLi1ELi0ELi2EEEESA_Li2ELi4ELi4ELb0ELi1ES9_SA_SA_Li2ELi4ELi4ELb0ELi1ELi1ELi1ENS8_IJLi1ELi32ELi1ELi8EEEELi2ELNS_13LoopSchedulerE0ELNS_15PipelineVersionE0EfLb0EEEffNS2_IJPKfSG_EEEfS6_S6_S7_NS_16TensorDescriptorINS2_IJNS_5EmbedINS2_IJiiEEENS2_IJiNS_17integral_constantIiLi1EEEEEELb0EEENS_11PassThroughIiEESQ_NS_7UnMergeINS2_IJiNSL_IiLi8EEEEEELb0EEESQ_EEENS2_IJNS8_IJLi0EEEENS8_IJLi1EEEENS8_IJLi2EEEENS8_IJLi4EEEENS8_IJLi3EEEEEEENS2_IJNS8_IJLi1ELi2EEEES10_SZ_NS8_IJLi5ELi6EEEENS8_IJLi7EEEEEEENS8_IJLi5ELi7ELi6EEEElEES17_NS2_IJNSI_INS2_IJSO_SQ_SQ_NSR_INS2_IJiNSL_IiLi256EEEEEELb0EEENSR_INS2_IJiNSL_IiLi128EEEEEELb0EEEEEENS2_IJSW_SX_SY_S10_SZ_EEENS2_IJS12_S10_SZ_S13_NS8_IJLi7ELi8EEEEEEENS8_IJLi5ELi6ELi7ELi8EEEElEES1J_EEES1J_NS_31BlockToCTileMap_M00_N0_M01AdaptILi256ELi128ENSI_INS2_IJSO_SQ_SQ_EEENS2_IJSW_SX_SY_EEENS2_IJS12_S10_SZ_EEENS8_IJLi3ELi4EEEElEEiEELb1EEEvPKT0_PKT1_T2_PT3_T4_T5_T6_T7_T8_T9_T10_T11_.kd
    .uniform_work_group_size: 1
    .uses_dynamic_stack: false
    .vgpr_count:     0
    .vgpr_spill_count: 0
    .wavefront_size: 64
  - .args:
      - .actual_access:  read_only
        .address_space:  global
        .offset:         0
        .size:           8
        .value_kind:     global_buffer
      - .actual_access:  read_only
        .address_space:  global
        .offset:         8
        .size:           8
        .value_kind:     global_buffer
      - .offset:         16
        .size:           16
        .value_kind:     by_value
      - .actual_access:  read_only
        .address_space:  global
        .offset:         32
        .size:           8
        .value_kind:     global_buffer
      - .offset:         40
        .size:           1
        .value_kind:     by_value
      - .offset:         41
        .size:           1
        .value_kind:     by_value
      - .offset:         42
        .size:           1
        .value_kind:     by_value
      - .offset:         48
        .size:           56
        .value_kind:     by_value
      - .offset:         104
        .size:           56
        .value_kind:     by_value
      - .offset:         160
        .size:           128
        .value_kind:     by_value
      - .offset:         288
        .size:           64
        .value_kind:     by_value
      - .offset:         352
        .size:           12
        .value_kind:     by_value
    .group_segment_fixed_size: 0
    .kernarg_segment_align: 8
    .kernarg_segment_size: 364
    .language:       OpenCL C
    .language_version:
      - 2
      - 0
    .max_flat_workgroup_size: 256
    .name:           _ZN2ck35kernel_gemm_multiple_d_xdl_cshuffleINS_34GridwiseGemmMultipleD_xdl_cshuffleIfffffNS_5TupleIJffEEEfNS_16tensor_operation12element_wise11PassThroughES6_NS5_14AddAddFastGeluELi1ELi256ELi256ELi128ELi32ELi8ELi8ELi16ELi16ELi8ELi2ENS_8SequenceIJLi4ELi64ELi1EEEENS8_IJLi1ELi0ELi2EEEESA_Li2ELi4ELi4ELb0ELi1ES9_SA_SA_Li2ELi4ELi4ELb0ELi1ELi1ELi1ENS8_IJLi1ELi32ELi1ELi8EEEELi2ELNS_13LoopSchedulerE0ELNS_15PipelineVersionE0EfLb0EEEffNS2_IJPKfSG_EEEfS6_S6_S7_NS_16TensorDescriptorINS2_IJNS_5EmbedINS2_IJiiEEENS2_IJiNS_17integral_constantIiLi1EEEEEELb0EEENS_11PassThroughIiEESQ_NS_7UnMergeINS2_IJiNSL_IiLi8EEEEEELb0EEESQ_EEENS2_IJNS8_IJLi0EEEENS8_IJLi1EEEENS8_IJLi2EEEENS8_IJLi4EEEENS8_IJLi3EEEEEEENS2_IJNS8_IJLi1ELi2EEEES10_SZ_NS8_IJLi5ELi6EEEENS8_IJLi7EEEEEEENS8_IJLi5ELi7ELi6EEEElEES17_NS2_IJNSI_INS2_IJSO_SQ_SQ_NSR_INS2_IJiNSL_IiLi256EEEEEELb0EEENSR_INS2_IJiNSL_IiLi128EEEEEELb0EEEEEENS2_IJSW_SX_SY_S10_SZ_EEENS2_IJS12_S10_SZ_S13_NS8_IJLi7ELi8EEEEEEENS8_IJLi5ELi6ELi7ELi8EEEElEES1J_EEES1J_NS_31BlockToCTileMap_M00_N0_M01AdaptILi256ELi128ENSI_INS2_IJSO_SQ_SQ_EEENS2_IJSW_SX_SY_EEENS2_IJS12_S10_SZ_EEENS8_IJLi3ELi4EEEElEEiEELb0EEEvPKT0_PKT1_T2_PT3_T4_T5_T6_T7_T8_T9_T10_T11_
    .private_segment_fixed_size: 0
    .sgpr_count:     4
    .sgpr_spill_count: 0
    .symbol:         _ZN2ck35kernel_gemm_multiple_d_xdl_cshuffleINS_34GridwiseGemmMultipleD_xdl_cshuffleIfffffNS_5TupleIJffEEEfNS_16tensor_operation12element_wise11PassThroughES6_NS5_14AddAddFastGeluELi1ELi256ELi256ELi128ELi32ELi8ELi8ELi16ELi16ELi8ELi2ENS_8SequenceIJLi4ELi64ELi1EEEENS8_IJLi1ELi0ELi2EEEESA_Li2ELi4ELi4ELb0ELi1ES9_SA_SA_Li2ELi4ELi4ELb0ELi1ELi1ELi1ENS8_IJLi1ELi32ELi1ELi8EEEELi2ELNS_13LoopSchedulerE0ELNS_15PipelineVersionE0EfLb0EEEffNS2_IJPKfSG_EEEfS6_S6_S7_NS_16TensorDescriptorINS2_IJNS_5EmbedINS2_IJiiEEENS2_IJiNS_17integral_constantIiLi1EEEEEELb0EEENS_11PassThroughIiEESQ_NS_7UnMergeINS2_IJiNSL_IiLi8EEEEEELb0EEESQ_EEENS2_IJNS8_IJLi0EEEENS8_IJLi1EEEENS8_IJLi2EEEENS8_IJLi4EEEENS8_IJLi3EEEEEEENS2_IJNS8_IJLi1ELi2EEEES10_SZ_NS8_IJLi5ELi6EEEENS8_IJLi7EEEEEEENS8_IJLi5ELi7ELi6EEEElEES17_NS2_IJNSI_INS2_IJSO_SQ_SQ_NSR_INS2_IJiNSL_IiLi256EEEEEELb0EEENSR_INS2_IJiNSL_IiLi128EEEEEELb0EEEEEENS2_IJSW_SX_SY_S10_SZ_EEENS2_IJS12_S10_SZ_S13_NS8_IJLi7ELi8EEEEEEENS8_IJLi5ELi6ELi7ELi8EEEElEES1J_EEES1J_NS_31BlockToCTileMap_M00_N0_M01AdaptILi256ELi128ENSI_INS2_IJSO_SQ_SQ_EEENS2_IJSW_SX_SY_EEENS2_IJS12_S10_SZ_EEENS8_IJLi3ELi4EEEElEEiEELb0EEEvPKT0_PKT1_T2_PT3_T4_T5_T6_T7_T8_T9_T10_T11_.kd
    .uniform_work_group_size: 1
    .uses_dynamic_stack: false
    .vgpr_count:     0
    .vgpr_spill_count: 0
    .wavefront_size: 64
amdhsa.target:   amdgcn-amd-amdhsa--gfx906
amdhsa.version:
  - 1
  - 2
...

	.end_amdgpu_metadata
